;; amdgpu-corpus repo=ROCm/aiter kind=harvested arch=n/a opt=n/a

/root/src/amdgpu-assembly/repos/ROCm__aiter/hsa/gfx950/f4gemm/f4gemm_bf16_per1x32Fp4_noBpreShuffle_256x256.co:	file format elf64-amdgpu

Disassembly of section .text:

0000000000002b00 <_ZN5aiter44f4gemm_bf16_per1x32Fp4_noBpreShuffle_256x256E>:
	s_and_b32 s1, s1, 0xffff                                   // 000000002B00: 8601FF01 0000FFFF
	s_load_dword s25, s[0:1], 0xe0                             // 000000002B08: C0020640 000000E0
	s_load_dword s26, s[0:1], 0xf0                             // 000000002B10: C0020680 000000F0
	s_load_dword s27, s[0:1], 0x100                            // 000000002B18: C00206C0 00000100
	s_load_dword s28, s[0:1], 0xa0                             // 000000002B20: C0020700 000000A0
	s_load_dword s29, s[0:1], 0xc0                             // 000000002B28: C0020740 000000C0
	s_load_dword s30, s[0:1], 0x80                             // 000000002B30: C0020780 00000080
	s_load_dword s20, s[0:1], 0x40                             // 000000002B38: C0020500 00000040
	s_load_dword s21, s[0:1], 0x50                             // 000000002B40: C0020540 00000050
	s_load_dwordx2 s[4:5], s[0:1], 0x20                        // 000000002B48: C0060100 00000020
	s_load_dwordx2 s[8:9], s[0:1], 0x30                        // 000000002B50: C0060200 00000030
	s_load_dwordx2 s[12:13], s[0:1], 0x10                      // 000000002B58: C0060300 00000010
	s_load_dwordx2 s[16:17], s[0:1], 0x0                       // 000000002B60: C0060400 00000000
	s_load_dwordx2 s[76:77], s[0:1], 0x110                     // 000000002B68: C0061300 00000110
	s_load_dwordx2 s[80:81], s[0:1], 0x120                     // 000000002B70: C0061400 00000120
	s_load_dword s93, s[0:1], 0x130                            // 000000002B78: C0021740 00000130
	s_load_dword s94, s[0:1], 0x150                            // 000000002B80: C0021780 00000150
	v_lshrrev_b32_e32 v1, 10, v0                               // 000000002B88: 2002008A
	v_lshrrev_b32_e32 v2, 10, v1                               // 000000002B8C: 2004028A
	v_and_b32_e32 v2, 0x3ff, v2                                // 000000002B90: 260404FF 000003FF
	v_and_b32_e32 v1, 0x3ff, v1                                // 000000002B98: 260202FF 000003FF
	v_and_b32_e32 v0, 0x3ff, v0                                // 000000002BA0: 260000FF 000003FF
	v_lshrrev_b32_e32 v3, 6, v0                                // 000000002BA8: 20060086
	v_and_b32_e32 v0, 63, v0                                   // 000000002BAC: 260000BF
	s_mov_b32 s22, s2                                          // 000000002BB0: BE960002
	s_mov_b32 s23, s3                                          // 000000002BB4: BE970003
	v_readfirstlane_b32 s24, v3                                // 000000002BB8: 7E300503
	s_waitcnt lgkmcnt(0)                                       // 000000002BBC: BF8CC07F
	s_mov_b32 s18, -16                                         // 000000002BC0: BE9200D0
	s_mov_b32 s14, -16                                         // 000000002BC4: BE8E00D0
	s_mov_b32 s10, -16                                         // 000000002BC8: BE8A00D0
	s_mov_b32 s6, -16                                          // 000000002BCC: BE8600D0
	s_add_u32 s32, s25, 0xff                                   // 000000002BD0: 8020FF19 000000FF
	s_lshr_b32 s32, s32, 8                                     // 000000002BD8: 8F208820
	s_lshl_b32 s32, s32, 8                                     // 000000002BDC: 8E208820
	s_mul_i32 s31, s32, s93                                    // 000000002BE0: 921F5D20
	s_mov_b32 s78, s31                                         // 000000002BE4: BECE001F
	s_mul_i32 s31, s26, s94                                    // 000000002BE8: 921F5E1A
	s_mov_b32 s82, s31                                         // 000000002BEC: BED2001F
	s_mov_b32 s19, 0x20000                                     // 000000002BF0: BE9300FF 00020000
	s_mov_b32 s15, 0x20000                                     // 000000002BF8: BE8F00FF 00020000
	s_mov_b32 s11, 0x20000                                     // 000000002C00: BE8B00FF 00020000
	s_mov_b32 s7, 0x20000                                      // 000000002C08: BE8700FF 00020000
	s_mov_b32 s79, 0x20000                                     // 000000002C10: BECF00FF 00020000
	s_mov_b32 s83, 0x20000                                     // 000000002C18: BED300FF 00020000
	s_and_b32 s17, s17, 0xffff                                 // 000000002C20: 8611FF11 0000FFFF
	s_and_b32 s13, s13, 0xffff                                 // 000000002C28: 860DFF0D 0000FFFF
	s_and_b32 s9, s9, 0xffff                                   // 000000002C30: 8609FF09 0000FFFF
	s_and_b32 s5, s5, 0xffff                                   // 000000002C38: 8605FF05 0000FFFF
	s_and_b32 s77, s77, 0xffff                                 // 000000002C40: 864DFF4D 0000FFFF
	s_and_b32 s81, s81, 0xffff                                 // 000000002C48: 8651FF51 0000FFFF
	s_or_b32 s17, s17, 0x40000                                 // 000000002C50: 8711FF11 00040000
	s_or_b32 s13, s13, 0x40000                                 // 000000002C58: 870DFF0D 00040000
	s_or_b32 s9, s9, 0x40000                                   // 000000002C60: 8709FF09 00040000
	s_or_b32 s5, s5, 0x40000                                   // 000000002C68: 8705FF05 00040000
	s_or_b32 s77, s77, 0x40000                                 // 000000002C70: 874DFF4D 00040000
	s_or_b32 s81, s81, 0x40000                                 // 000000002C78: 8751FF51 00040000
	s_lshr_b32 s28, s28, 1                                     // 000000002C80: 8F1C811C
	s_mul_i32 s31, s23, 0x100                                  // 000000002C84: 921FFF17 00000100
	s_mul_i32 s56, s31, s28                                    // 000000002C8C: 92381C1F
	s_mul_i32 s31, s28, s25                                    // 000000002C90: 921F191C
	s_mov_b32 s6, s31                                          // 000000002C94: BE86001F
	v_lshrrev_b32_e32 v4, 3, v0                                // 000000002C98: 20080083
	v_lshrrev_b32_e32 v5, 2, v4                                // 000000002C9C: 200A0882
	v_lshlrev_b32_e32 v5, 4, v5                                // 000000002CA0: 240A0A84
	v_and_b32_e32 v4, 3, v4                                    // 000000002CA4: 26080883
	v_lshrrev_b32_e32 v6, 1, v4                                // 000000002CA8: 200C0881
	v_lshlrev_b32_e32 v6, 2, v6                                // 000000002CAC: 240C0C82
	v_add_u32_e32 v5, v5, v6                                   // 000000002CB0: 680A0D05
	v_and_b32_e32 v4, 1, v4                                    // 000000002CB4: 26080881
	v_add_u32_e32 v5, v5, v4                                   // 000000002CB8: 680A0905
	v_mul_lo_u32 v140, s28, v5                                 // 000000002CBC: D285008C 00020A1C
	v_and_b32_e32 v4, 7, v0                                    // 000000002CC4: 26080087
	v_lshlrev_b32_e32 v4, 4, v4                                // 000000002CC8: 24080884
	v_add_u32_e32 v140, v140, v4                               // 000000002CCC: 6918098C
	s_lshr_b32 s31, s24, 1                                     // 000000002CD0: 8F1F8118
	s_mul_i32 s31, s31, 8                                      // 000000002CD4: 921F881F
	s_and_b32 s32, s24, 1                                      // 000000002CD8: 86208118
	s_mul_i32 s32, s32, 2                                      // 000000002CDC: 92208220
	s_add_u32 s31, s31, s32                                    // 000000002CE0: 801F201F
	s_mul_i32 s31, s28, s31                                    // 000000002CE4: 921F1F1C
	s_add_u32 s56, s56, s31                                    // 000000002CE8: 80381F38
	v_add_u32_e32 v140, s56, v140                              // 000000002CEC: 69191838
	s_mul_i32 s31, s28, 32                                     // 000000002CF0: 921FA01C
	v_add_u32_e32 v141, s31, v140                              // 000000002CF4: 691B181F
	s_mul_i32 s31, s28, 0x80                                   // 000000002CF8: 921FFF1C 00000080
	v_add_u32_e32 v142, s31, v140                              // 000000002D00: 691D181F
	v_add_u32_e32 v143, s31, v141                              // 000000002D04: 691F1A1F
	s_mul_i32 s57, 0x420, s24                                  // 000000002D08: 923918FF 00000420
	s_add_u32 s57, 0x2000, s57                                 // 000000002D10: 803939FF 00002000
	s_add_u32 s58, 0x4200, s57                                 // 000000002D18: 803A39FF 00004200
	s_add_u32 s59, 0x8400, s57                                 // 000000002D20: 803B39FF 00008400
	s_add_u32 s60, 0x8400, s58                                 // 000000002D28: 803C3AFF 00008400
	s_mov_b32 s61, 0x80                                        // 000000002D30: BEBD00FF 00000080
	s_mul_i32 s62, 64, s28                                     // 000000002D38: 923E1CC0
	s_mov_b32 s71, s4                                          // 000000002D3C: BEC70004
	s_mov_b32 s72, s5                                          // 000000002D40: BEC80005
	s_mov_b32 s12, s4                                          // 000000002D44: BE8C0004
	s_mov_b32 s13, s5                                          // 000000002D48: BE8D0005
	s_mov_b32 s14, s6                                          // 000000002D4C: BE8E0006
	s_mov_b32 s15, s7                                          // 000000002D50: BE8F0007
	s_cmp_le_u32 s14, s62                                      // 000000002D54: BF0B3E0E
	s_cselect_b32 s21, 0, s61                                  // 000000002D58: 85153D80
	s_cselect_b32 s31, s14, s62                                // 000000002D5C: 851F3E0E
	s_add_u32 s12, s12, s62                                    // 000000002D60: 800C3E0C
	s_addc_u32 s13, 0, s13                                     // 000000002D64: 820D0D80
	s_sub_u32 s14, s14, s31                                    // 000000002D68: 808E1F0E
	v_and_b32_e32 v4, 15, v0                                   // 000000002D6C: 2608008F
	v_lshrrev_b32_e32 v5, 3, v4                                // 000000002D70: 200A0883
	v_mul_i32_i24_e32 v5, 2, v5                                // 000000002D74: 0C0A0A82
	v_and_b32_e32 v4, 3, v0                                    // 000000002D78: 26080083
	v_lshrrev_b32_e32 v6, 1, v4                                // 000000002D7C: 200C0881
	v_add_u32_e32 v4, v5, v6                                   // 000000002D80: 68080D05
	v_mul_i32_i24_e32 v144, 0x420, v4                          // 000000002D84: 0D2008FF 00000420
	v_and_b32_e32 v4, 7, v0                                    // 000000002D8C: 26080087
	v_lshrrev_b32_e32 v5, 2, v4                                // 000000002D90: 200A0882
	v_mul_i32_i24_e32 v5, 0x100, v5                            // 000000002D94: 0C0A0AFF 00000100
	v_and_b32_e32 v4, 1, v0                                    // 000000002D9C: 26080081
	v_mul_i32_i24_e32 v6, 0x80, v4                             // 000000002DA0: 0C0C08FF 00000080
	v_add_u32_e32 v144, v5, v144                               // 000000002DA8: 69212105
	v_add_u32_e32 v144, v6, v144                               // 000000002DAC: 69212106
	v_lshrrev_b32_e32 v4, 4, v0                                // 000000002DB0: 20080084
	v_mul_i32_i24_e32 v4, 16, v4                               // 000000002DB4: 0C080890
	v_add_u32_e32 v144, v4, v144                               // 000000002DB8: 69212104
	s_mov_b32 s31, 0x2000                                      // 000000002DBC: BE9F00FF 00002000
	v_add_u32_e64 v144, v144, s31                              // 000000002DC4: D1340090 00003F90
	s_and_b32 s32, s24, 1                                      // 000000002DCC: 86208118
	s_mul_i32 s32, s32, 0x2100                                 // 000000002DD0: 9220FF20 00002100
	v_add_u32_e64 v144, v144, s32                              // 000000002DD8: D1340090 00004190
	v_mov_b32_e32 v145, v144                                   // 000000002DE0: 7F220390
	s_lshr_b32 s29, s29, 1                                     // 000000002DE4: 8F1D811D
	s_mul_i32 s31, s22, 0x100                                  // 000000002DE8: 921FFF16 00000100
	s_mul_i32 s63, s31, s29                                    // 000000002DF0: 923F1D1F
	s_mul_i32 s31, s29, s26                                    // 000000002DF4: 921F1A1D
	s_mov_b32 s10, s31                                         // 000000002DF8: BE8A001F
	v_lshrrev_b32_e32 v4, 3, v0                                // 000000002DFC: 20080083
	v_lshrrev_b32_e32 v5, 2, v4                                // 000000002E00: 200A0882
	v_lshlrev_b32_e32 v5, 4, v5                                // 000000002E04: 240A0A84
	v_and_b32_e32 v4, 3, v4                                    // 000000002E08: 26080883
	v_lshrrev_b32_e32 v6, 1, v4                                // 000000002E0C: 200C0881
	v_lshlrev_b32_e32 v6, 2, v6                                // 000000002E10: 240C0C82
	v_add_u32_e32 v5, v5, v6                                   // 000000002E14: 680A0D05
	v_and_b32_e32 v4, 1, v4                                    // 000000002E18: 26080881
	v_add_u32_e32 v5, v5, v4                                   // 000000002E1C: 680A0905
	v_mul_lo_u32 v146, s29, v5                                 // 000000002E20: D2850092 00020A1D
	v_and_b32_e32 v4, 7, v0                                    // 000000002E28: 26080087
	v_lshlrev_b32_e32 v4, 4, v4                                // 000000002E2C: 24080884
	v_add_u32_e32 v146, v146, v4                               // 000000002E30: 69240992
	s_lshr_b32 s31, s24, 1                                     // 000000002E34: 8F1F8118
	s_mul_i32 s31, s31, 8                                      // 000000002E38: 921F881F
	s_and_b32 s32, s24, 1                                      // 000000002E3C: 86208118
	s_mul_i32 s32, s32, 2                                      // 000000002E40: 92208220
	s_add_u32 s31, s31, s32                                    // 000000002E44: 801F201F
	s_mul_i32 s31, s29, s31                                    // 000000002E48: 921F1F1D
	s_add_u32 s63, s63, s31                                    // 000000002E4C: 803F1F3F
	v_add_u32_e32 v146, s63, v146                              // 000000002E50: 6925243F
	s_mul_i32 s31, s29, 32                                     // 000000002E54: 921FA01D
	v_add_u32_e32 v147, s31, v146                              // 000000002E58: 6927241F
	s_mul_i32 s31, s29, 0x80                                   // 000000002E5C: 921FFF1D 00000080
	v_add_u32_e32 v148, s31, v146                              // 000000002E64: 6929241F
	v_add_u32_e32 v149, s31, v147                              // 000000002E68: 692B261F
	s_mul_i32 s65, 0x420, s24                                  // 000000002E6C: 924118FF 00000420
	s_add_u32 s65, 0x12800, s65                                // 000000002E74: 804141FF 00012800
	s_add_u32 s66, 0x4200, s65                                 // 000000002E7C: 804241FF 00004200
	s_add_u32 s67, 0x8400, s65                                 // 000000002E84: 804341FF 00008400
	s_add_u32 s68, 0x8400, s66                                 // 000000002E8C: 804442FF 00008400
	s_mov_b32 s69, 0x80                                        // 000000002E94: BEC500FF 00000080
	s_mul_i32 s70, 64, s29                                     // 000000002E9C: 92461DC0
	s_mov_b32 s73, s8                                          // 000000002EA0: BEC90008
	s_mov_b32 s74, s9                                          // 000000002EA4: BECA0009
	v_and_b32_e32 v4, 15, v0                                   // 000000002EA8: 2608008F
	v_lshrrev_b32_e32 v5, 3, v4                                // 000000002EAC: 200A0883
	v_mul_i32_i24_e32 v5, 2, v5                                // 000000002EB0: 0C0A0A82
	v_and_b32_e32 v4, 3, v0                                    // 000000002EB4: 26080083
	v_lshrrev_b32_e32 v6, 1, v4                                // 000000002EB8: 200C0881
	v_add_u32_e32 v4, v5, v6                                   // 000000002EBC: 68080D05
	v_mul_i32_i24_e32 v150, 0x420, v4                          // 000000002EC0: 0D2C08FF 00000420
	v_and_b32_e32 v4, 7, v0                                    // 000000002EC8: 26080087
	v_lshrrev_b32_e32 v5, 2, v4                                // 000000002ECC: 200A0882
	v_mul_i32_i24_e32 v5, 0x100, v5                            // 000000002ED0: 0C0A0AFF 00000100
	v_and_b32_e32 v4, 1, v0                                    // 000000002ED8: 26080081
	v_mul_i32_i24_e32 v6, 0x80, v4                             // 000000002EDC: 0C0C08FF 00000080
	v_add_u32_e32 v150, v5, v150                               // 000000002EE4: 692D2D05
	v_add_u32_e32 v150, v6, v150                               // 000000002EE8: 692D2D06
	v_lshrrev_b32_e32 v4, 4, v0                                // 000000002EEC: 20080084
	v_mul_i32_i24_e32 v4, 16, v4                               // 000000002EF0: 0C080890
	v_add_u32_e32 v150, v4, v150                               // 000000002EF4: 692D2D04
	s_mov_b32 s31, 0x12800                                     // 000000002EF8: BE9F00FF 00012800
	v_add_u32_e64 v150, v150, s31                              // 000000002F00: D1340096 00003F96
	s_lshr_b32 s32, s24, 1                                     // 000000002F08: 8F208118
	s_mul_i32 s32, s32, 0x2100                                 // 000000002F0C: 9220FF20 00002100
	v_add_u32_e64 v150, v150, s32                              // 000000002F14: D1340096 00004196
	v_mov_b32_e32 v151, v150                                   // 000000002F1C: 7F2E0396
	s_lshl_b32 s30, s30, 1                                     // 000000002F20: 8E1E811E
	s_mul_i32 s31, s23, 0x100                                  // 000000002F24: 921FFF17 00000100
	s_mul_hi_u32 s32, s31, s30                                 // 000000002F2C: 96201E1F
	s_add_u32 s17, s17, s32                                    // 000000002F30: 80112011
	s_mul_i32 s32, s31, s30                                    // 000000002F34: 92201E1F
	s_add_u32 s16, s16, s32                                    // 000000002F38: 80102010
	s_addc_u32 s17, 0, s17                                     // 000000002F3C: 82111180
	s_mov_b32 s31, 0                                           // 000000002F40: BE9F0080
	s_and_b32 s32, s24, 1                                      // 000000002F44: 86208118
	s_mul_i32 s32, s32, 0x80                                   // 000000002F48: 9220FF20 00000080
	s_add_i32 s31, s32, s31                                    // 000000002F50: 811F1F20
	s_mul_i32 s35, s31, s30                                    // 000000002F54: 92231E1F
	s_mul_i32 s31, s22, 0x100                                  // 000000002F58: 921FFF16 00000100
	s_lshr_b32 s32, s24, 1                                     // 000000002F60: 8F208118
	s_mul_i32 s32, s32, 0x80                                   // 000000002F64: 9220FF20 00000080
	s_add_i32 s31, s32, s31                                    // 000000002F6C: 811F1F20
	s_lshl_b32 s31, s31, 1                                     // 000000002F70: 8E1F811F
	s_add_i32 s35, s31, s35                                    // 000000002F74: 8123231F
	s_mul_i32 s32, s30, 16                                     // 000000002F78: 9220901E
	s_add_i32 s36, s35, s32                                    // 000000002F7C: 81242023
	s_add_i32 s37, s36, s32                                    // 000000002F80: 81252024
	s_add_i32 s38, s37, s32                                    // 000000002F84: 81262025
	s_add_i32 s39, s38, s32                                    // 000000002F88: 81272026
	s_add_i32 s40, s39, s32                                    // 000000002F8C: 81282027
	s_add_i32 s41, s40, s32                                    // 000000002F90: 81292028
	s_add_i32 s42, s41, s32                                    // 000000002F94: 812A2029
	s_mov_b32 s53, s35                                         // 000000002F98: BEB50023
	v_and_b32_e64 v7, v0, 15                                   // 000000002F9C: D1130007 00011F00
	v_mul_lo_u32 v7, v7, s30                                   // 000000002FA4: D2850007 00003D07
	v_lshrrev_b32_e32 v3, 5, v0                                // 000000002FAC: 20060085
	v_mul_i32_i24_e32 v3, 16, v3                               // 000000002FB0: 0C060690
	v_add_u32_e32 v7, v3, v7                                   // 000000002FB4: 680E0F03
	v_and_b32_e32 v3, 31, v0                                   // 000000002FB8: 2606009F
	v_lshrrev_b32_e32 v3, 4, v3                                // 000000002FBC: 20060684
	v_mul_i32_i24_e32 v3, 32, v3                               // 000000002FC0: 0C0606A0
	v_add_u32_e32 v7, v3, v7                                   // 000000002FC4: 680E0F03
	v_lshrrev_b32_e32 v7, 2, v7                                // 000000002FC8: 200E0E82
	v_and_b32_e64 v8, v0, 15                                   // 000000002FCC: D1130008 00011F00
	v_mul_lo_u32 v8, v8, s30                                   // 000000002FD4: D2850008 00003D08
	v_lshrrev_b32_e32 v3, 4, v0                                // 000000002FDC: 20060084
	v_mul_i32_i24_e32 v3, 8, v3                                // 000000002FE0: 0C060688
	v_add_u32_e32 v8, v3, v8                                   // 000000002FE4: 68101103
	v_lshrrev_b32_e32 v8, 2, v8                                // 000000002FE8: 20101082
	v_lshlrev_b32_e32 v160, 2, v0                              // 000000002FEC: 25400082
	v_lshlrev_b32_e32 v162, 2, v0                              // 000000002FF0: 25440082
	s_mul_i32 s31, s23, 0x100                                  // 000000002FF4: 921FFF17 00000100
	s_lshr_b32 s32, s24, 1                                     // 000000002FFC: 8F208118
	s_mul_i32 s32, s32, 0x80                                   // 000000003000: 9220FF20 00000080
	s_add_i32 s31, s32, s31                                    // 000000003008: 811F1F20
	s_and_b32 s32, s24, 1                                      // 00000000300C: 86208118
	s_mul_i32 s32, s32, 32                                     // 000000003010: 9220A020
	s_add_i32 s31, s32, s31                                    // 000000003014: 811F1F20
	s_mul_i32 s32, s31, s93                                    // 000000003018: 92205D1F
	v_add_u32_e32 v160, s32, v160                              // 00000000301C: 69414020
	s_mul_i32 s32, 64, s93                                     // 000000003020: 92205DC0
	v_add_u32_e32 v161, s32, v160                              // 000000003024: 69434020
	v_lshlrev_b32_e32 v164, 2, v0                              // 000000003028: 25480082
	s_mov_b32 s31, 0                                           // 00000000302C: BE9F0080
	v_add_u32_e64 v164, v164, s31                              // 000000003030: D13400A4 00003FA4
	s_and_b32 s32, s24, 1                                      // 000000003038: 86208118
	s_mul_i32 s32, s32, 0x200                                  // 00000000303C: 9220FF20 00000200
	v_add_u32_e64 v164, v164, s32                              // 000000003044: D13400A4 000041A4
	s_mul_i32 s75, s24, 0x100                                  // 00000000304C: 924BFF18 00000100
	s_add_i32 s75, s75, 0                                      // 000000003054: 814B804B
	s_mul_i32 s31, s22, 0x100                                  // 000000003058: 921FFF16 00000100
	s_lshr_b32 s32, s24, 1                                     // 000000003060: 8F208118
	s_mul_i32 s32, s32, 0x80                                   // 000000003064: 9220FF20 00000080
	s_add_i32 s31, s32, s31                                    // 00000000306C: 811F1F20
	s_and_b32 s32, s24, 1                                      // 000000003070: 86208118
	s_mul_i32 s32, s32, 32                                     // 000000003074: 9220A020
	s_add_i32 s31, s32, s31                                    // 000000003078: 811F1F20
	s_mul_i32 s32, s31, s94                                    // 00000000307C: 92205E1F
	v_add_u32_e32 v162, s32, v162                              // 000000003080: 69454420
	s_mul_i32 s32, 64, s94                                     // 000000003084: 92205EC0
	v_add_u32_e32 v163, s32, v162                              // 000000003088: 69474420
	v_lshlrev_b32_e32 v165, 2, v0                              // 00000000308C: 254A0082
	s_mov_b32 s31, 0x1000                                      // 000000003090: BE9F00FF 00001000
	v_add_u32_e64 v165, v165, s31                              // 000000003098: D13400A5 00003FA5
	s_lshr_b32 s32, s24, 1                                     // 0000000030A0: 8F208118
	s_mul_i32 s32, s32, 0x200                                  // 0000000030A4: 9220FF20 00000200
	v_add_u32_e64 v165, v165, s32                              // 0000000030AC: D13400A5 000041A5
	s_mul_i32 s95, s24, 0x100                                  // 0000000030B4: 925FFF18 00000100
	s_add_i32 s95, s95, 0x1000                                 // 0000000030BC: 815FFF5F 00001000
	s_mov_b32 s34, s27                                         // 0000000030C4: BEA2001B
	s_mov_b32 s33, 0                                           // 0000000030C8: BEA10080
	s_mov_b32 m0, s57                                          // 0000000030CC: BEFC0039
	buffer_load_dwordx4 v140, s[4:7], 0 offen lds              // 0000000030D0: E05D1000 8001008C
	s_add_u32 m0, 0x1080, s57                                  // 0000000030D8: 807C39FF 00001080
	buffer_load_dwordx4 v141, s[4:7], 0 offen lds              // 0000000030E0: E05D1000 8001008D
	s_add_u32 m0, 0x2100, s57                                  // 0000000030E8: 807C39FF 00002100
	buffer_load_dwordx4 v142, s[4:7], 0 offen lds              // 0000000030F0: E05D1000 8001008E
	s_add_u32 m0, 0x3180, s57                                  // 0000000030F8: 807C39FF 00003180
	buffer_load_dwordx4 v143, s[4:7], 0 offen lds              // 000000003100: E05D1000 8001008F
	s_add_u32 s4, s61, s4                                      // 000000003108: 8004043D
	s_addc_u32 s5, 0, s5                                       // 00000000310C: 82050580
	s_sub_u32 s6, s6, s61                                      // 000000003110: 80863D06
	s_add_u32 m0, s75, 0                                       // 000000003114: 807C804B
	buffer_load_dword v160, s[76:79], 0 offen lds              // 000000003118: E0511000 801300A0
	v_add_u32_e32 v160, 0x100, v160                            // 000000003120: 694140FF 00000100
	s_mov_b32 m0, s65                                          // 000000003128: BEFC0041
	buffer_load_dwordx4 v146, s[8:11], 0 offen lds             // 00000000312C: E05D1000 80020092
	s_add_u32 m0, 0x1080, s65                                  // 000000003134: 807C41FF 00001080
	buffer_load_dwordx4 v147, s[8:11], 0 offen lds             // 00000000313C: E05D1000 80020093
	s_add_u32 m0, 0x2100, s65                                  // 000000003144: 807C41FF 00002100
	buffer_load_dwordx4 v148, s[8:11], 0 offen lds             // 00000000314C: E05D1000 80020094
	s_add_u32 m0, 0x3180, s65                                  // 000000003154: 807C41FF 00003180
	buffer_load_dwordx4 v149, s[8:11], 0 offen lds             // 00000000315C: E05D1000 80020095
	s_add_u32 s8, s70, s8                                      // 000000003164: 80080846
	s_addc_u32 s9, 0, s9                                       // 000000003168: 82090980
	s_add_u32 m0, s95, 0                                       // 00000000316C: 807C805F
	buffer_load_dword v162, s[80:83], 0 offen lds              // 000000003170: E0511000 801400A2
	v_add_u32_e32 v162, 0x100, v162                            // 000000003178: 694544FF 00000100
	v_accvgpr_write_b32 a0, 0                                  // 000000003180: D3D94000 18000080
	v_accvgpr_write_b32 a1, 0                                  // 000000003188: D3D94001 18000080
	v_accvgpr_write_b32 a2, 0                                  // 000000003190: D3D94002 18000080
	v_accvgpr_write_b32 a3, 0                                  // 000000003198: D3D94003 18000080
	v_accvgpr_write_b32 a4, 0                                  // 0000000031A0: D3D94004 18000080
	v_accvgpr_write_b32 a5, 0                                  // 0000000031A8: D3D94005 18000080
	v_accvgpr_write_b32 a6, 0                                  // 0000000031B0: D3D94006 18000080
	v_accvgpr_write_b32 a7, 0                                  // 0000000031B8: D3D94007 18000080
	v_accvgpr_write_b32 a8, 0                                  // 0000000031C0: D3D94008 18000080
	v_accvgpr_write_b32 a9, 0                                  // 0000000031C8: D3D94009 18000080
	v_accvgpr_write_b32 a10, 0                                 // 0000000031D0: D3D9400A 18000080
	v_accvgpr_write_b32 a11, 0                                 // 0000000031D8: D3D9400B 18000080
	v_accvgpr_write_b32 a12, 0                                 // 0000000031E0: D3D9400C 18000080
	v_accvgpr_write_b32 a13, 0                                 // 0000000031E8: D3D9400D 18000080
	v_accvgpr_write_b32 a14, 0                                 // 0000000031F0: D3D9400E 18000080
	v_accvgpr_write_b32 a15, 0                                 // 0000000031F8: D3D9400F 18000080
	v_accvgpr_write_b32 a16, 0                                 // 000000003200: D3D94010 18000080
	v_accvgpr_write_b32 a17, 0                                 // 000000003208: D3D94011 18000080
	v_accvgpr_write_b32 a18, 0                                 // 000000003210: D3D94012 18000080
	v_accvgpr_write_b32 a19, 0                                 // 000000003218: D3D94013 18000080
	v_accvgpr_write_b32 a20, 0                                 // 000000003220: D3D94014 18000080
	v_accvgpr_write_b32 a21, 0                                 // 000000003228: D3D94015 18000080
	v_accvgpr_write_b32 a22, 0                                 // 000000003230: D3D94016 18000080
	v_accvgpr_write_b32 a23, 0                                 // 000000003238: D3D94017 18000080
	v_accvgpr_write_b32 a24, 0                                 // 000000003240: D3D94018 18000080
	v_accvgpr_write_b32 a25, 0                                 // 000000003248: D3D94019 18000080
	v_accvgpr_write_b32 a26, 0                                 // 000000003250: D3D9401A 18000080
	v_accvgpr_write_b32 a27, 0                                 // 000000003258: D3D9401B 18000080
	v_accvgpr_write_b32 a28, 0                                 // 000000003260: D3D9401C 18000080
	v_accvgpr_write_b32 a29, 0                                 // 000000003268: D3D9401D 18000080
	v_accvgpr_write_b32 a30, 0                                 // 000000003270: D3D9401E 18000080
	v_accvgpr_write_b32 a31, 0                                 // 000000003278: D3D9401F 18000080
	v_accvgpr_write_b32 a32, 0                                 // 000000003280: D3D94020 18000080
	v_accvgpr_write_b32 a33, 0                                 // 000000003288: D3D94021 18000080
	v_accvgpr_write_b32 a34, 0                                 // 000000003290: D3D94022 18000080
	v_accvgpr_write_b32 a35, 0                                 // 000000003298: D3D94023 18000080
	v_accvgpr_write_b32 a36, 0                                 // 0000000032A0: D3D94024 18000080
	v_accvgpr_write_b32 a37, 0                                 // 0000000032A8: D3D94025 18000080
	v_accvgpr_write_b32 a38, 0                                 // 0000000032B0: D3D94026 18000080
	v_accvgpr_write_b32 a39, 0                                 // 0000000032B8: D3D94027 18000080
	v_accvgpr_write_b32 a40, 0                                 // 0000000032C0: D3D94028 18000080
	v_accvgpr_write_b32 a41, 0                                 // 0000000032C8: D3D94029 18000080
	v_accvgpr_write_b32 a42, 0                                 // 0000000032D0: D3D9402A 18000080
	v_accvgpr_write_b32 a43, 0                                 // 0000000032D8: D3D9402B 18000080
	v_accvgpr_write_b32 a44, 0                                 // 0000000032E0: D3D9402C 18000080
	v_accvgpr_write_b32 a45, 0                                 // 0000000032E8: D3D9402D 18000080
	v_accvgpr_write_b32 a46, 0                                 // 0000000032F0: D3D9402E 18000080
	v_accvgpr_write_b32 a47, 0                                 // 0000000032F8: D3D9402F 18000080
	v_accvgpr_write_b32 a48, 0                                 // 000000003300: D3D94030 18000080
	v_accvgpr_write_b32 a49, 0                                 // 000000003308: D3D94031 18000080
	v_accvgpr_write_b32 a50, 0                                 // 000000003310: D3D94032 18000080
	v_accvgpr_write_b32 a51, 0                                 // 000000003318: D3D94033 18000080
	v_accvgpr_write_b32 a52, 0                                 // 000000003320: D3D94034 18000080
	v_accvgpr_write_b32 a53, 0                                 // 000000003328: D3D94035 18000080
	v_accvgpr_write_b32 a54, 0                                 // 000000003330: D3D94036 18000080
	v_accvgpr_write_b32 a55, 0                                 // 000000003338: D3D94037 18000080
	v_accvgpr_write_b32 a56, 0                                 // 000000003340: D3D94038 18000080
	v_accvgpr_write_b32 a57, 0                                 // 000000003348: D3D94039 18000080
	v_accvgpr_write_b32 a58, 0                                 // 000000003350: D3D9403A 18000080
	v_accvgpr_write_b32 a59, 0                                 // 000000003358: D3D9403B 18000080
	v_accvgpr_write_b32 a60, 0                                 // 000000003360: D3D9403C 18000080
	v_accvgpr_write_b32 a61, 0                                 // 000000003368: D3D9403D 18000080
	v_accvgpr_write_b32 a62, 0                                 // 000000003370: D3D9403E 18000080
	v_accvgpr_write_b32 a63, 0                                 // 000000003378: D3D9403F 18000080
	s_mov_b32 m0, s58                                          // 000000003380: BEFC003A
	buffer_load_dwordx4 v140, s[12:15], 0 offen lds            // 000000003384: E05D1000 8003008C
	s_add_u32 m0, 0x1080, s58                                  // 00000000338C: 807C3AFF 00001080
	buffer_load_dwordx4 v141, s[12:15], 0 offen lds            // 000000003394: E05D1000 8003008D
	s_add_u32 m0, 0x2100, s58                                  // 00000000339C: 807C3AFF 00002100
	buffer_load_dwordx4 v142, s[12:15], 0 offen lds            // 0000000033A4: E05D1000 8003008E
	s_add_u32 m0, 0x3180, s58                                  // 0000000033AC: 807C3AFF 00003180
	buffer_load_dwordx4 v143, s[12:15], 0 offen lds            // 0000000033B4: E05D1000 8003008F
	s_add_u32 s12, s61, s12                                    // 0000000033BC: 800C0C3D
	s_addc_u32 s13, 0, s13                                     // 0000000033C0: 820D0D80
	s_sub_u32 s14, s14, s21                                    // 0000000033C4: 808E150E
	s_add_u32 m0, s75, 0x400                                   // 0000000033C8: 807CFF4B 00000400
	buffer_load_dword v161, s[76:79], 0 offen lds              // 0000000033D0: E0511000 801300A1
	v_add_u32_e32 v161, 0x100, v161                            // 0000000033D8: 694342FF 00000100
	s_mov_b32 m0, s66                                          // 0000000033E0: BEFC0042
	buffer_load_dwordx4 v146, s[8:11], 0 offen lds             // 0000000033E4: E05D1000 80020092
	s_add_u32 m0, 0x1080, s66                                  // 0000000033EC: 807C42FF 00001080
	buffer_load_dwordx4 v147, s[8:11], 0 offen lds             // 0000000033F4: E05D1000 80020093
	s_add_u32 m0, 0x2100, s66                                  // 0000000033FC: 807C42FF 00002100
	buffer_load_dwordx4 v148, s[8:11], 0 offen lds             // 000000003404: E05D1000 80020094
	s_add_u32 m0, 0x3180, s66                                  // 00000000340C: 807C42FF 00003180
	buffer_load_dwordx4 v149, s[8:11], 0 offen lds             // 000000003414: E05D1000 80020095
	s_add_u32 s73, s73, s69                                    // 00000000341C: 80494549
	s_addc_u32 s74, 0, s74                                     // 000000003420: 824A4A80
	s_mov_b32 s8, s73                                          // 000000003424: BE880049
	s_mov_b32 s9, s74                                          // 000000003428: BE89004A
	s_add_u32 m0, s95, 0x400                                   // 00000000342C: 807CFF5F 00000400
	buffer_load_dword v163, s[80:83], 0 offen lds              // 000000003434: E0511000 801400A3
	v_add_u32_e32 v163, 0x100, v163                            // 00000000343C: 694746FF 00000100
	v_accvgpr_write_b32 a64, 0                                 // 000000003444: D3D94040 18000080
	v_accvgpr_write_b32 a65, 0                                 // 00000000344C: D3D94041 18000080
	v_accvgpr_write_b32 a66, 0                                 // 000000003454: D3D94042 18000080
	v_accvgpr_write_b32 a67, 0                                 // 00000000345C: D3D94043 18000080
	v_accvgpr_write_b32 a68, 0                                 // 000000003464: D3D94044 18000080
	v_accvgpr_write_b32 a69, 0                                 // 00000000346C: D3D94045 18000080
	v_accvgpr_write_b32 a70, 0                                 // 000000003474: D3D94046 18000080
	v_accvgpr_write_b32 a71, 0                                 // 00000000347C: D3D94047 18000080
	v_accvgpr_write_b32 a72, 0                                 // 000000003484: D3D94048 18000080
	v_accvgpr_write_b32 a73, 0                                 // 00000000348C: D3D94049 18000080
	v_accvgpr_write_b32 a74, 0                                 // 000000003494: D3D9404A 18000080
	v_accvgpr_write_b32 a75, 0                                 // 00000000349C: D3D9404B 18000080
	v_accvgpr_write_b32 a76, 0                                 // 0000000034A4: D3D9404C 18000080
	v_accvgpr_write_b32 a77, 0                                 // 0000000034AC: D3D9404D 18000080
	v_accvgpr_write_b32 a78, 0                                 // 0000000034B4: D3D9404E 18000080
	v_accvgpr_write_b32 a79, 0                                 // 0000000034BC: D3D9404F 18000080
	v_accvgpr_write_b32 a80, 0                                 // 0000000034C4: D3D94050 18000080
	v_accvgpr_write_b32 a81, 0                                 // 0000000034CC: D3D94051 18000080
	v_accvgpr_write_b32 a82, 0                                 // 0000000034D4: D3D94052 18000080
	v_accvgpr_write_b32 a83, 0                                 // 0000000034DC: D3D94053 18000080
	v_accvgpr_write_b32 a84, 0                                 // 0000000034E4: D3D94054 18000080
	v_accvgpr_write_b32 a85, 0                                 // 0000000034EC: D3D94055 18000080
	v_accvgpr_write_b32 a86, 0                                 // 0000000034F4: D3D94056 18000080
	v_accvgpr_write_b32 a87, 0                                 // 0000000034FC: D3D94057 18000080
	v_accvgpr_write_b32 a88, 0                                 // 000000003504: D3D94058 18000080
	v_accvgpr_write_b32 a89, 0                                 // 00000000350C: D3D94059 18000080
	v_accvgpr_write_b32 a90, 0                                 // 000000003514: D3D9405A 18000080
	v_accvgpr_write_b32 a91, 0                                 // 00000000351C: D3D9405B 18000080
	v_accvgpr_write_b32 a92, 0                                 // 000000003524: D3D9405C 18000080
	v_accvgpr_write_b32 a93, 0                                 // 00000000352C: D3D9405D 18000080
	v_accvgpr_write_b32 a94, 0                                 // 000000003534: D3D9405E 18000080
	v_accvgpr_write_b32 a95, 0                                 // 00000000353C: D3D9405F 18000080
	v_accvgpr_write_b32 a96, 0                                 // 000000003544: D3D94060 18000080
	v_accvgpr_write_b32 a97, 0                                 // 00000000354C: D3D94061 18000080
	v_accvgpr_write_b32 a98, 0                                 // 000000003554: D3D94062 18000080
	v_accvgpr_write_b32 a99, 0                                 // 00000000355C: D3D94063 18000080
	v_accvgpr_write_b32 a100, 0                                // 000000003564: D3D94064 18000080
	v_accvgpr_write_b32 a101, 0                                // 00000000356C: D3D94065 18000080
	v_accvgpr_write_b32 a102, 0                                // 000000003574: D3D94066 18000080
	v_accvgpr_write_b32 a103, 0                                // 00000000357C: D3D94067 18000080
	v_accvgpr_write_b32 a104, 0                                // 000000003584: D3D94068 18000080
	v_accvgpr_write_b32 a105, 0                                // 00000000358C: D3D94069 18000080
	v_accvgpr_write_b32 a106, 0                                // 000000003594: D3D9406A 18000080
	v_accvgpr_write_b32 a107, 0                                // 00000000359C: D3D9406B 18000080
	v_accvgpr_write_b32 a108, 0                                // 0000000035A4: D3D9406C 18000080
	v_accvgpr_write_b32 a109, 0                                // 0000000035AC: D3D9406D 18000080
	v_accvgpr_write_b32 a110, 0                                // 0000000035B4: D3D9406E 18000080
	v_accvgpr_write_b32 a111, 0                                // 0000000035BC: D3D9406F 18000080
	v_accvgpr_write_b32 a112, 0                                // 0000000035C4: D3D94070 18000080
	v_accvgpr_write_b32 a113, 0                                // 0000000035CC: D3D94071 18000080
	v_accvgpr_write_b32 a114, 0                                // 0000000035D4: D3D94072 18000080
	v_accvgpr_write_b32 a115, 0                                // 0000000035DC: D3D94073 18000080
	v_accvgpr_write_b32 a116, 0                                // 0000000035E4: D3D94074 18000080
	v_accvgpr_write_b32 a117, 0                                // 0000000035EC: D3D94075 18000080
	v_accvgpr_write_b32 a118, 0                                // 0000000035F4: D3D94076 18000080
	v_accvgpr_write_b32 a119, 0                                // 0000000035FC: D3D94077 18000080
	v_accvgpr_write_b32 a120, 0                                // 000000003604: D3D94078 18000080
	v_accvgpr_write_b32 a121, 0                                // 00000000360C: D3D94079 18000080
	v_accvgpr_write_b32 a122, 0                                // 000000003614: D3D9407A 18000080
	v_accvgpr_write_b32 a123, 0                                // 00000000361C: D3D9407B 18000080
	v_accvgpr_write_b32 a124, 0                                // 000000003624: D3D9407C 18000080
	v_accvgpr_write_b32 a125, 0                                // 00000000362C: D3D9407D 18000080
	v_accvgpr_write_b32 a126, 0                                // 000000003634: D3D9407E 18000080
	v_accvgpr_write_b32 a127, 0                                // 00000000363C: D3D9407F 18000080
	s_cmp_eq_u32 s34, 0x200                                    // 000000003644: BF06FF22 00000200
	s_cbranch_scc0 label_02DA                                  // 00000000364C: BF840006
	s_add_u32 s31, 0x300, s33                                  // 000000003650: 801F21FF 00000300
	s_cmp_lt_u32 s31, s34                                      // 000000003658: BF0A221F
	s_cselect_b32 s61, s61, 0                                  // 00000000365C: 853D803D
	s_cselect_b32 s21, s21, 0                                  // 000000003660: 85158015
	s_cselect_b32 s69, s69, 0                                  // 000000003664: 85458045

0000000000003668 <label_02DA>:
	s_mov_b32 m0, s59                                          // 000000003668: BEFC003B
	buffer_load_dwordx4 v140, s[4:7], 0 offen lds              // 00000000366C: E05D1000 8001008C
	s_add_u32 m0, 0x1080, s59                                  // 000000003674: 807C3BFF 00001080
	buffer_load_dwordx4 v141, s[4:7], 0 offen lds              // 00000000367C: E05D1000 8001008D
	s_add_u32 m0, 0x2100, s59                                  // 000000003684: 807C3BFF 00002100
	buffer_load_dwordx4 v142, s[4:7], 0 offen lds              // 00000000368C: E05D1000 8001008E
	s_add_u32 m0, 0x3180, s59                                  // 000000003694: 807C3BFF 00003180
	buffer_load_dwordx4 v143, s[4:7], 0 offen lds              // 00000000369C: E05D1000 8001008F
	s_add_u32 s4, s61, s4                                      // 0000000036A4: 8004043D
	s_addc_u32 s5, 0, s5                                       // 0000000036A8: 82050580
	s_sub_u32 s6, s6, s61                                      // 0000000036AC: 80863D06
	s_add_u32 m0, s75, 0x800                                   // 0000000036B0: 807CFF4B 00000800
	buffer_load_dword v160, s[76:79], 0 offen lds              // 0000000036B8: E0511000 801300A0
	v_add_u32_e32 v160, 0x100, v160                            // 0000000036C0: 694140FF 00000100
	s_mov_b32 m0, s67                                          // 0000000036C8: BEFC0043
	buffer_load_dwordx4 v146, s[8:11], 0 offen lds             // 0000000036CC: E05D1000 80020092
	s_add_u32 m0, 0x1080, s67                                  // 0000000036D4: 807C43FF 00001080
	buffer_load_dwordx4 v147, s[8:11], 0 offen lds             // 0000000036DC: E05D1000 80020093
	s_add_u32 m0, 0x2100, s67                                  // 0000000036E4: 807C43FF 00002100
	buffer_load_dwordx4 v148, s[8:11], 0 offen lds             // 0000000036EC: E05D1000 80020094
	s_add_u32 m0, 0x3180, s67                                  // 0000000036F4: 807C43FF 00003180
	buffer_load_dwordx4 v149, s[8:11], 0 offen lds             // 0000000036FC: E05D1000 80020095
	s_add_u32 s8, s70, s8                                      // 000000003704: 80080846
	s_addc_u32 s9, 0, s9                                       // 000000003708: 82090980
	s_add_u32 m0, s95, 0x800                                   // 00000000370C: 807CFF5F 00000800
	buffer_load_dword v162, s[80:83], 0 offen lds              // 000000003714: E0511000 801400A2
	v_add_u32_e32 v162, 0x100, v162                            // 00000000371C: 694544FF 00000100
	v_accvgpr_write_b32 a128, 0                                // 000000003724: D3D94080 18000080
	v_accvgpr_write_b32 a129, 0                                // 00000000372C: D3D94081 18000080
	v_accvgpr_write_b32 a130, 0                                // 000000003734: D3D94082 18000080
	v_accvgpr_write_b32 a131, 0                                // 00000000373C: D3D94083 18000080
	v_accvgpr_write_b32 a132, 0                                // 000000003744: D3D94084 18000080
	v_accvgpr_write_b32 a133, 0                                // 00000000374C: D3D94085 18000080
	v_accvgpr_write_b32 a134, 0                                // 000000003754: D3D94086 18000080
	v_accvgpr_write_b32 a135, 0                                // 00000000375C: D3D94087 18000080
	v_accvgpr_write_b32 a136, 0                                // 000000003764: D3D94088 18000080
	v_accvgpr_write_b32 a137, 0                                // 00000000376C: D3D94089 18000080
	v_accvgpr_write_b32 a138, 0                                // 000000003774: D3D9408A 18000080
	v_accvgpr_write_b32 a139, 0                                // 00000000377C: D3D9408B 18000080
	v_accvgpr_write_b32 a140, 0                                // 000000003784: D3D9408C 18000080
	v_accvgpr_write_b32 a141, 0                                // 00000000378C: D3D9408D 18000080
	v_accvgpr_write_b32 a142, 0                                // 000000003794: D3D9408E 18000080
	v_accvgpr_write_b32 a143, 0                                // 00000000379C: D3D9408F 18000080
	v_accvgpr_write_b32 a144, 0                                // 0000000037A4: D3D94090 18000080
	v_accvgpr_write_b32 a145, 0                                // 0000000037AC: D3D94091 18000080
	v_accvgpr_write_b32 a146, 0                                // 0000000037B4: D3D94092 18000080
	v_accvgpr_write_b32 a147, 0                                // 0000000037BC: D3D94093 18000080
	v_accvgpr_write_b32 a148, 0                                // 0000000037C4: D3D94094 18000080
	v_accvgpr_write_b32 a149, 0                                // 0000000037CC: D3D94095 18000080
	v_accvgpr_write_b32 a150, 0                                // 0000000037D4: D3D94096 18000080
	v_accvgpr_write_b32 a151, 0                                // 0000000037DC: D3D94097 18000080
	v_accvgpr_write_b32 a152, 0                                // 0000000037E4: D3D94098 18000080
	v_accvgpr_write_b32 a153, 0                                // 0000000037EC: D3D94099 18000080
	v_accvgpr_write_b32 a154, 0                                // 0000000037F4: D3D9409A 18000080
	v_accvgpr_write_b32 a155, 0                                // 0000000037FC: D3D9409B 18000080
	v_accvgpr_write_b32 a156, 0                                // 000000003804: D3D9409C 18000080
	v_accvgpr_write_b32 a157, 0                                // 00000000380C: D3D9409D 18000080
	v_accvgpr_write_b32 a158, 0                                // 000000003814: D3D9409E 18000080
	v_accvgpr_write_b32 a159, 0                                // 00000000381C: D3D9409F 18000080
	v_accvgpr_write_b32 a160, 0                                // 000000003824: D3D940A0 18000080
	v_accvgpr_write_b32 a161, 0                                // 00000000382C: D3D940A1 18000080
	v_accvgpr_write_b32 a162, 0                                // 000000003834: D3D940A2 18000080
	v_accvgpr_write_b32 a163, 0                                // 00000000383C: D3D940A3 18000080
	v_accvgpr_write_b32 a164, 0                                // 000000003844: D3D940A4 18000080
	v_accvgpr_write_b32 a165, 0                                // 00000000384C: D3D940A5 18000080
	v_accvgpr_write_b32 a166, 0                                // 000000003854: D3D940A6 18000080
	v_accvgpr_write_b32 a167, 0                                // 00000000385C: D3D940A7 18000080
	v_accvgpr_write_b32 a168, 0                                // 000000003864: D3D940A8 18000080
	v_accvgpr_write_b32 a169, 0                                // 00000000386C: D3D940A9 18000080
	v_accvgpr_write_b32 a170, 0                                // 000000003874: D3D940AA 18000080
	v_accvgpr_write_b32 a171, 0                                // 00000000387C: D3D940AB 18000080
	v_accvgpr_write_b32 a172, 0                                // 000000003884: D3D940AC 18000080
	v_accvgpr_write_b32 a173, 0                                // 00000000388C: D3D940AD 18000080
	v_accvgpr_write_b32 a174, 0                                // 000000003894: D3D940AE 18000080
	v_accvgpr_write_b32 a175, 0                                // 00000000389C: D3D940AF 18000080
	v_accvgpr_write_b32 a176, 0                                // 0000000038A4: D3D940B0 18000080
	v_accvgpr_write_b32 a177, 0                                // 0000000038AC: D3D940B1 18000080
	v_accvgpr_write_b32 a178, 0                                // 0000000038B4: D3D940B2 18000080
	v_accvgpr_write_b32 a179, 0                                // 0000000038BC: D3D940B3 18000080
	v_accvgpr_write_b32 a180, 0                                // 0000000038C4: D3D940B4 18000080
	v_accvgpr_write_b32 a181, 0                                // 0000000038CC: D3D940B5 18000080
	v_accvgpr_write_b32 a182, 0                                // 0000000038D4: D3D940B6 18000080
	v_accvgpr_write_b32 a183, 0                                // 0000000038DC: D3D940B7 18000080
	v_accvgpr_write_b32 a184, 0                                // 0000000038E4: D3D940B8 18000080
	v_accvgpr_write_b32 a185, 0                                // 0000000038EC: D3D940B9 18000080
	v_accvgpr_write_b32 a186, 0                                // 0000000038F4: D3D940BA 18000080
	v_accvgpr_write_b32 a187, 0                                // 0000000038FC: D3D940BB 18000080
	v_accvgpr_write_b32 a188, 0                                // 000000003904: D3D940BC 18000080
	v_accvgpr_write_b32 a189, 0                                // 00000000390C: D3D940BD 18000080
	v_accvgpr_write_b32 a190, 0                                // 000000003914: D3D940BE 18000080
	v_accvgpr_write_b32 a191, 0                                // 00000000391C: D3D940BF 18000080
	s_mov_b32 m0, s60                                          // 000000003924: BEFC003C
	buffer_load_dwordx4 v140, s[12:15], 0 offen lds            // 000000003928: E05D1000 8003008C
	s_add_u32 m0, 0x1080, s60                                  // 000000003930: 807C3CFF 00001080
	buffer_load_dwordx4 v141, s[12:15], 0 offen lds            // 000000003938: E05D1000 8003008D
	s_add_u32 m0, 0x2100, s60                                  // 000000003940: 807C3CFF 00002100
	buffer_load_dwordx4 v142, s[12:15], 0 offen lds            // 000000003948: E05D1000 8003008E
	s_add_u32 m0, 0x3180, s60                                  // 000000003950: 807C3CFF 00003180
	buffer_load_dwordx4 v143, s[12:15], 0 offen lds            // 000000003958: E05D1000 8003008F
	s_add_u32 s12, s61, s12                                    // 000000003960: 800C0C3D
	s_addc_u32 s13, 0, s13                                     // 000000003964: 820D0D80
	s_sub_u32 s14, s14, s21                                    // 000000003968: 808E150E
	s_add_u32 m0, s75, 0xc00                                   // 00000000396C: 807CFF4B 00000C00
	buffer_load_dword v161, s[76:79], 0 offen lds              // 000000003974: E0511000 801300A1
	v_add_u32_e32 v161, 0x100, v161                            // 00000000397C: 694342FF 00000100
	s_mov_b32 m0, s68                                          // 000000003984: BEFC0044
	buffer_load_dwordx4 v146, s[8:11], 0 offen lds             // 000000003988: E05D1000 80020092
	s_add_u32 m0, 0x1080, s68                                  // 000000003990: 807C44FF 00001080
	buffer_load_dwordx4 v147, s[8:11], 0 offen lds             // 000000003998: E05D1000 80020093
	s_add_u32 m0, 0x2100, s68                                  // 0000000039A0: 807C44FF 00002100
	buffer_load_dwordx4 v148, s[8:11], 0 offen lds             // 0000000039A8: E05D1000 80020094
	s_add_u32 m0, 0x3180, s68                                  // 0000000039B0: 807C44FF 00003180
	buffer_load_dwordx4 v149, s[8:11], 0 offen lds             // 0000000039B8: E05D1000 80020095
	s_add_u32 s73, s73, s69                                    // 0000000039C0: 80494549
	s_addc_u32 s74, 0, s74                                     // 0000000039C4: 824A4A80
	s_mov_b32 s8, s73                                          // 0000000039C8: BE880049
	s_mov_b32 s9, s74                                          // 0000000039CC: BE89004A
	s_add_u32 m0, s95, 0xc00                                   // 0000000039D0: 807CFF5F 00000C00
	buffer_load_dword v163, s[80:83], 0 offen lds              // 0000000039D8: E0511000 801400A3
	v_add_u32_e32 v163, 0x100, v163                            // 0000000039E0: 694746FF 00000100
	v_accvgpr_write_b32 a192, 0                                // 0000000039E8: D3D940C0 18000080
	v_accvgpr_write_b32 a193, 0                                // 0000000039F0: D3D940C1 18000080
	v_accvgpr_write_b32 a194, 0                                // 0000000039F8: D3D940C2 18000080
	v_accvgpr_write_b32 a195, 0                                // 000000003A00: D3D940C3 18000080
	v_accvgpr_write_b32 a196, 0                                // 000000003A08: D3D940C4 18000080
	v_accvgpr_write_b32 a197, 0                                // 000000003A10: D3D940C5 18000080
	v_accvgpr_write_b32 a198, 0                                // 000000003A18: D3D940C6 18000080
	v_accvgpr_write_b32 a199, 0                                // 000000003A20: D3D940C7 18000080
	v_accvgpr_write_b32 a200, 0                                // 000000003A28: D3D940C8 18000080
	v_accvgpr_write_b32 a201, 0                                // 000000003A30: D3D940C9 18000080
	v_accvgpr_write_b32 a202, 0                                // 000000003A38: D3D940CA 18000080
	v_accvgpr_write_b32 a203, 0                                // 000000003A40: D3D940CB 18000080
	v_accvgpr_write_b32 a204, 0                                // 000000003A48: D3D940CC 18000080
	v_accvgpr_write_b32 a205, 0                                // 000000003A50: D3D940CD 18000080
	v_accvgpr_write_b32 a206, 0                                // 000000003A58: D3D940CE 18000080
	v_accvgpr_write_b32 a207, 0                                // 000000003A60: D3D940CF 18000080
	v_accvgpr_write_b32 a208, 0                                // 000000003A68: D3D940D0 18000080
	v_accvgpr_write_b32 a209, 0                                // 000000003A70: D3D940D1 18000080
	v_accvgpr_write_b32 a210, 0                                // 000000003A78: D3D940D2 18000080
	v_accvgpr_write_b32 a211, 0                                // 000000003A80: D3D940D3 18000080
	v_accvgpr_write_b32 a212, 0                                // 000000003A88: D3D940D4 18000080
	v_accvgpr_write_b32 a213, 0                                // 000000003A90: D3D940D5 18000080
	v_accvgpr_write_b32 a214, 0                                // 000000003A98: D3D940D6 18000080
	v_accvgpr_write_b32 a215, 0                                // 000000003AA0: D3D940D7 18000080
	v_accvgpr_write_b32 a216, 0                                // 000000003AA8: D3D940D8 18000080
	v_accvgpr_write_b32 a217, 0                                // 000000003AB0: D3D940D9 18000080
	v_accvgpr_write_b32 a218, 0                                // 000000003AB8: D3D940DA 18000080
	v_accvgpr_write_b32 a219, 0                                // 000000003AC0: D3D940DB 18000080
	v_accvgpr_write_b32 a220, 0                                // 000000003AC8: D3D940DC 18000080
	v_accvgpr_write_b32 a221, 0                                // 000000003AD0: D3D940DD 18000080
	v_accvgpr_write_b32 a222, 0                                // 000000003AD8: D3D940DE 18000080
	v_accvgpr_write_b32 a223, 0                                // 000000003AE0: D3D940DF 18000080
	v_accvgpr_write_b32 a224, 0                                // 000000003AE8: D3D940E0 18000080
	v_accvgpr_write_b32 a225, 0                                // 000000003AF0: D3D940E1 18000080
	v_accvgpr_write_b32 a226, 0                                // 000000003AF8: D3D940E2 18000080
	v_accvgpr_write_b32 a227, 0                                // 000000003B00: D3D940E3 18000080
	v_accvgpr_write_b32 a228, 0                                // 000000003B08: D3D940E4 18000080
	v_accvgpr_write_b32 a229, 0                                // 000000003B10: D3D940E5 18000080
	v_accvgpr_write_b32 a230, 0                                // 000000003B18: D3D940E6 18000080
	v_accvgpr_write_b32 a231, 0                                // 000000003B20: D3D940E7 18000080
	v_accvgpr_write_b32 a232, 0                                // 000000003B28: D3D940E8 18000080
	v_accvgpr_write_b32 a233, 0                                // 000000003B30: D3D940E9 18000080
	v_accvgpr_write_b32 a234, 0                                // 000000003B38: D3D940EA 18000080
	v_accvgpr_write_b32 a235, 0                                // 000000003B40: D3D940EB 18000080
	v_accvgpr_write_b32 a236, 0                                // 000000003B48: D3D940EC 18000080
	v_accvgpr_write_b32 a237, 0                                // 000000003B50: D3D940ED 18000080
	v_accvgpr_write_b32 a238, 0                                // 000000003B58: D3D940EE 18000080
	v_accvgpr_write_b32 a239, 0                                // 000000003B60: D3D940EF 18000080
	v_accvgpr_write_b32 a240, 0                                // 000000003B68: D3D940F0 18000080
	v_accvgpr_write_b32 a241, 0                                // 000000003B70: D3D940F1 18000080
	v_accvgpr_write_b32 a242, 0                                // 000000003B78: D3D940F2 18000080
	v_accvgpr_write_b32 a243, 0                                // 000000003B80: D3D940F3 18000080
	v_accvgpr_write_b32 a244, 0                                // 000000003B88: D3D940F4 18000080
	v_accvgpr_write_b32 a245, 0                                // 000000003B90: D3D940F5 18000080
	v_accvgpr_write_b32 a246, 0                                // 000000003B98: D3D940F6 18000080
	v_accvgpr_write_b32 a247, 0                                // 000000003BA0: D3D940F7 18000080
	v_accvgpr_write_b32 a248, 0                                // 000000003BA8: D3D940F8 18000080
	v_accvgpr_write_b32 a249, 0                                // 000000003BB0: D3D940F9 18000080
	v_accvgpr_write_b32 a250, 0                                // 000000003BB8: D3D940FA 18000080
	v_accvgpr_write_b32 a251, 0                                // 000000003BC0: D3D940FB 18000080
	v_accvgpr_write_b32 a252, 0                                // 000000003BC8: D3D940FC 18000080
	v_accvgpr_write_b32 a253, 0                                // 000000003BD0: D3D940FD 18000080
	v_accvgpr_write_b32 a254, 0                                // 000000003BD8: D3D940FE 18000080
	v_accvgpr_write_b32 a255, 0                                // 000000003BE0: D3D940FF 18000080
	s_waitcnt vmcnt(20)                                        // 000000003BE8: BF8C4F74
	s_barrier                                                  // 000000003BEC: BF8A0000
	ds_read_b128 v[12:15], v144                                // 000000003BF0: D9FE0000 0C000090
	ds_read_b128 v[28:31], v144 offset:64                      // 000000003BF8: D9FE0040 1C000090
	ds_read_b128 v[16:19], v144 offset:512                     // 000000003C00: D9FE0200 10000090
	ds_read_b128 v[32:35], v144 offset:576                     // 000000003C08: D9FE0240 20000090
	ds_read_b128 v[20:23], v144 offset:4224                    // 000000003C10: D9FE1080 14000090
	ds_read_b128 v[36:39], v144 offset:4288                    // 000000003C18: D9FE10C0 24000090
	ds_read_b128 v[24:27], v144 offset:4736                    // 000000003C20: D9FE1280 18000090
	ds_read_b128 v[40:43], v144 offset:4800                    // 000000003C28: D9FE12C0 28000090
	ds_read_b32 v152, v164                                     // 000000003C30: D86C0000 980000A4
	ds_read_b32 v153, v164 offset:256                          // 000000003C38: D86C0100 990000A4
	ds_read_b128 v[76:79], v150                                // 000000003C40: D9FE0000 4C000096
	ds_read_b128 v[92:95], v150 offset:64                      // 000000003C48: D9FE0040 5C000096
	ds_read_b128 v[80:83], v150 offset:512                     // 000000003C50: D9FE0200 50000096
	ds_read_b128 v[96:99], v150 offset:576                     // 000000003C58: D9FE0240 60000096
	ds_read_b128 v[84:87], v150 offset:4224                    // 000000003C60: D9FE1080 54000096
	ds_read_b128 v[100:103], v150 offset:4288                  // 000000003C68: D9FE10C0 64000096
	ds_read_b128 v[88:91], v150 offset:4736                    // 000000003C70: D9FE1280 58000096
	ds_read_b128 v[104:107], v150 offset:4800                  // 000000003C78: D9FE12C0 68000096
	ds_read_b32 v156, v165                                     // 000000003C80: D86C0000 9C0000A5
	ds_read_b32 v157, v165 offset:256                          // 000000003C88: D86C0100 9D0000A5
	s_nop 0                                                    // 000000003C90: BF800000
	s_nop 0                                                    // 000000003C94: BF800000
	s_nop 0                                                    // 000000003C98: BF800000
	s_nop 0                                                    // 000000003C9C: BF800000
	s_nop 0                                                    // 000000003CA0: BF800000
	s_waitcnt lgkmcnt(0)                                       // 000000003CA4: BF8CC07F
	s_barrier                                                  // 000000003CA8: BF8A0000
	s_cmp_lt_i32 s24, 2                                        // 000000003CAC: BF048218
	s_cbranch_scc0 label_09F6                                  // 000000003CB0: BF840589

0000000000003cb4 <label_046D>:
	s_cmp_lt_i32 s33, s34                                      // 000000003CB4: BF042221
	s_cbranch_scc0 label_0F7F                                  // 000000003CB8: BF840B10
	s_waitcnt lgkmcnt(0)                                       // 000000003CBC: BF8CC07F
	s_barrier                                                  // 000000003CC0: BF8A0000
	v_mfma_scale_f32_16x16x128_f8f6f4 a[0:3], v[76:79], v[12:15], a[0:3], v156, v152 op_sel_hi:[0,0,0] cbsz:4 blgp:4// 000000003CC4: D3AC6000 0003319C D3AD8C00 8402194C
	ds_read_b128 v[44:47], v144 offset:16896                   // 000000003CD4: D9FE4200 2C000090
	ds_read_b128 v[60:63], v144 offset:16960                   // 000000003CDC: D9FE4240 3C000090
	v_mfma_scale_f32_16x16x128_f8f6f4 a[4:7], v[76:79], v[16:19], a[4:7], v156, v152 op_sel_hi:[0,0,0] cbsz:4 blgp:4// 000000003CE4: D3AC1000 0003319C D3AD8C04 8412214C
	s_mov_b32 m0, s57                                          // 000000003CF4: BEFC0039
	buffer_load_dwordx4 v140, s[4:7], 0 offen lds              // 000000003CF8: E05D1000 8001008C
	v_mfma_scale_f32_16x16x128_f8f6f4 a[32:35], v[80:83], v[12:15], a[32:35], v156, v152 op_sel_hi:[0,0,0] cbsz:4 blgp:4// 000000003D00: D3AC6800 0003319C D3AD8C20 84821950
	ds_read_b128 v[48:51], v144 offset:17408                   // 000000003D10: D9FE4400 30000090
	ds_read_b128 v[64:67], v144 offset:17472                   // 000000003D18: D9FE4440 40000090
	v_mfma_scale_f32_16x16x128_f8f6f4 a[36:39], v[80:83], v[16:19], a[36:39], v156, v152 op_sel_hi:[0,0,0] cbsz:4 blgp:4// 000000003D20: D3AC7800 0003319C D3AD8C24 84922150
	ds_read_b32 v154, v164 offset:1024                         // 000000003D30: D86C0400 9A0000A4
	v_mfma_scale_f32_16x16x128_f8f6f4 a[64:67], v[84:87], v[12:15], a[64:67], v157, v152 op_sel_hi:[0,0,0] cbsz:4 blgp:4// 000000003D38: D3AC6000 0003319D D3AD8C40 85021954
	ds_read_b128 v[52:55], v144 offset:21120                   // 000000003D48: D9FE5280 34000090
	ds_read_b128 v[68:71], v144 offset:21184                   // 000000003D50: D9FE52C0 44000090
	v_mfma_scale_f32_16x16x128_f8f6f4 a[68:71], v[84:87], v[16:19], a[68:71], v157, v152 op_sel_hi:[0,0,0] cbsz:4 blgp:4// 000000003D58: D3AC7000 0003319D D3AD8C44 85122154
	ds_read_b32 v155, v164 offset:1280                         // 000000003D68: D86C0500 9B0000A4
	v_mfma_scale_f32_16x16x128_f8f6f4 a[96:99], v[88:91], v[12:15], a[96:99], v157, v152 op_sel_hi:[0,0,0] cbsz:4 blgp:4// 000000003D70: D3AC6800 0003319D D3AD8C60 85821958
	ds_read_b128 v[56:59], v144 offset:21632                   // 000000003D80: D9FE5480 38000090
	ds_read_b128 v[72:75], v144 offset:21696                   // 000000003D88: D9FE54C0 48000090
	v_add_u32_e32 v144, 0x8400, v144                           // 000000003D90: 692120FF 00008400
	v_mfma_scale_f32_16x16x128_f8f6f4 a[100:103], v[88:91], v[16:19], a[100:103], v157, v152 op_sel_hi:[0,0,0] cbsz:4 blgp:4// 000000003D98: D3AC7800 0003319D D3AD8C64 85922158
	ds_read_b32 v158, v165 offset:1024                         // 000000003DA8: D86C0400 9E0000A5
	v_mfma_scale_f32_16x16x128_f8f6f4 a[72:75], v[84:87], v[20:23], a[72:75], v157, v153 op_sel_hi:[0,0,0] cbsz:4 blgp:4// 000000003DB0: D3AC6000 0003339D D3AD8C48 85222954
	ds_read_b128 v[108:111], v150 offset:16896                 // 000000003DC0: D9FE4200 6C000096
	ds_read_b128 v[124:127], v150 offset:16960                 // 000000003DC8: D9FE4240 7C000096
	v_mfma_scale_f32_16x16x128_f8f6f4 a[76:79], v[84:87], v[24:27], a[76:79], v157, v153 op_sel_hi:[0,0,0] cbsz:4 blgp:4// 000000003DD0: D3AC7000 0003339D D3AD8C4C 85323154
	s_add_u32 m0, 0x1080, s57                                  // 000000003DE0: 807C39FF 00001080
	buffer_load_dwordx4 v141, s[4:7], 0 offen lds              // 000000003DE8: E05D1000 8001008D
	v_mfma_scale_f32_16x16x128_f8f6f4 a[104:107], v[88:91], v[20:23], a[104:107], v157, v153 op_sel_hi:[0,0,0] cbsz:4 blgp:4// 000000003DF0: D3AC6800 0003339D D3AD8C68 85A22958
	ds_read_b128 v[112:115], v150 offset:17408                 // 000000003E00: D9FE4400 70000096
	ds_read_b128 v[128:131], v150 offset:17472                 // 000000003E08: D9FE4440 80000096
	v_mfma_scale_f32_16x16x128_f8f6f4 a[108:111], v[88:91], v[24:27], a[108:111], v157, v153 op_sel_hi:[0,0,0] cbsz:4 blgp:4// 000000003E10: D3AC7800 0003339D D3AD8C6C 85B23158
	ds_read_b32 v159, v165 offset:1280                         // 000000003E20: D86C0500 9F0000A5
	v_mfma_scale_f32_16x16x128_f8f6f4 a[8:11], v[76:79], v[20:23], a[8:11], v156, v153 op_sel_hi:[0,0,0] cbsz:4 blgp:4// 000000003E28: D3AC6000 0003339C D3AD8C08 8422294C
	ds_read_b128 v[116:119], v150 offset:21120                 // 000000003E38: D9FE5280 74000096
	ds_read_b128 v[132:135], v150 offset:21184                 // 000000003E40: D9FE52C0 84000096
	v_mfma_scale_f32_16x16x128_f8f6f4 a[12:15], v[76:79], v[24:27], a[12:15], v156, v153 op_sel_hi:[0,0,0] cbsz:4 blgp:4// 000000003E48: D3AC7000 0003339C D3AD8C0C 8432314C
	s_add_u32 m0, s75, 0                                       // 000000003E58: 807C804B
	buffer_load_dword v160, s[76:79], 0 offen lds              // 000000003E5C: E0511000 801300A0
	v_add_u32_e32 v160, 0x100, v160                            // 000000003E64: 694140FF 00000100
	v_mfma_scale_f32_16x16x128_f8f6f4 a[40:43], v[80:83], v[20:23], a[40:43], v156, v153 op_sel_hi:[0,0,0] cbsz:4 blgp:4// 000000003E6C: D3AC6800 0003339C D3AD8C28 84A22950
	ds_read_b128 v[120:123], v150 offset:21632                 // 000000003E7C: D9FE5480 78000096
	ds_read_b128 v[136:139], v150 offset:21696                 // 000000003E84: D9FE54C0 88000096
	v_add_u32_e32 v150, 0x8400, v150                           // 000000003E8C: 692D2CFF 00008400
	v_mfma_scale_f32_16x16x128_f8f6f4 a[44:47], v[80:83], v[24:27], a[44:47], v156, v153 op_sel_hi:[0,0,0] cbsz:4 blgp:4// 000000003E94: D3AC7800 0003339C D3AD8C2C 84B23150
	v_mfma_scale_f32_16x16x128_f8f6f4 a[0:3], v[92:95], v[28:31], a[0:3], v156, v152 op_sel_hi:[0,0,0] cbsz:4 blgp:4// 000000003EA4: D3AC6000 1803319C D3AD8C00 8402395C
	v_mfma_scale_f32_16x16x128_f8f6f4 a[4:7], v[92:95], v[32:35], a[4:7], v156, v152 op_sel_hi:[0,0,0] cbsz:4 blgp:4// 000000003EB4: D3AC7000 1803319C D3AD8C04 8412415C
	s_add_u32 m0, 0x2100, s57                                  // 000000003EC4: 807C39FF 00002100
	buffer_load_dwordx4 v142, s[4:7], 0 offen lds              // 000000003ECC: E05D1000 8001008E
	v_mfma_scale_f32_16x16x128_f8f6f4 a[32:35], v[96:99], v[28:31], a[32:35], v156, v152 op_sel_hi:[0,0,0] cbsz:4 blgp:4// 000000003ED4: D3AC6800 1803319C D3AD8C20 84823960
	v_mfma_scale_f32_16x16x128_f8f6f4 a[36:39], v[96:99], v[32:35], a[36:39], v156, v152 op_sel_hi:[0,0,0] cbsz:4 blgp:4// 000000003EE4: D3AC7800 1803319C D3AD8C24 84924160
	v_mfma_scale_f32_16x16x128_f8f6f4 a[64:67], v[100:103], v[28:31], a[64:67], v157, v152 op_sel_hi:[0,0,0] cbsz:4 blgp:4// 000000003EF4: D3AC6000 1803319D D3AD8C40 85023964
	v_mfma_scale_f32_16x16x128_f8f6f4 a[68:71], v[100:103], v[32:35], a[68:71], v157, v152 op_sel_hi:[0,0,0] cbsz:4 blgp:4// 000000003F04: D3AC7000 1803319D D3AD8C44 85124164
	v_mfma_scale_f32_16x16x128_f8f6f4 a[96:99], v[104:107], v[28:31], a[96:99], v157, v152 op_sel_hi:[0,0,0] cbsz:4 blgp:4// 000000003F14: D3AC6800 1803319D D3AD8C60 85823968
	v_mfma_scale_f32_16x16x128_f8f6f4 a[100:103], v[104:107], v[32:35], a[100:103], v157, v152 op_sel_hi:[0,0,0] cbsz:4 blgp:4// 000000003F24: D3AC7800 1803319D D3AD8C64 85924168
	v_mfma_scale_f32_16x16x128_f8f6f4 a[72:75], v[100:103], v[36:39], a[72:75], v157, v153 op_sel_hi:[0,0,0] cbsz:4 blgp:4// 000000003F34: D3AC6000 1803339D D3AD8C48 85224964
	v_mfma_scale_f32_16x16x128_f8f6f4 a[76:79], v[100:103], v[40:43], a[76:79], v157, v153 op_sel_hi:[0,0,0] cbsz:4 blgp:4// 000000003F44: D3AC7000 1803339D D3AD8C4C 85325164
	s_add_u32 m0, 0x3180, s57                                  // 000000003F54: 807C39FF 00003180
	buffer_load_dwordx4 v143, s[4:7], 0 offen lds              // 000000003F5C: E05D1000 8001008F
	v_mfma_scale_f32_16x16x128_f8f6f4 a[104:107], v[104:107], v[36:39], a[104:107], v157, v153 op_sel_hi:[0,0,0] cbsz:4 blgp:4// 000000003F64: D3AC6800 1803339D D3AD8C68 85A24968
	s_add_u32 s4, s61, s4                                      // 000000003F74: 8004043D
	s_addc_u32 s5, 0, s5                                       // 000000003F78: 82050580
	s_sub_u32 s6, s6, s61                                      // 000000003F7C: 80863D06
	v_mfma_scale_f32_16x16x128_f8f6f4 a[108:111], v[104:107], v[40:43], a[108:111], v157, v153 op_sel_hi:[0,0,0] cbsz:4 blgp:4// 000000003F80: D3AC7800 1803339D D3AD8C6C 85B25168
	v_mfma_scale_f32_16x16x128_f8f6f4 a[8:11], v[92:95], v[36:39], a[8:11], v156, v153 op_sel_hi:[0,0,0] cbsz:4 blgp:4// 000000003F90: D3AC6000 1803339C D3AD8C08 8422495C
	v_mfma_scale_f32_16x16x128_f8f6f4 a[12:15], v[92:95], v[40:43], a[12:15], v156, v153 op_sel_hi:[0,0,0] cbsz:4 blgp:4// 000000003FA0: D3AC7000 1803339C D3AD8C0C 8432515C
	v_mfma_scale_f32_16x16x128_f8f6f4 a[40:43], v[96:99], v[36:39], a[40:43], v156, v153 op_sel_hi:[0,0,0] cbsz:4 blgp:4// 000000003FB0: D3AC6800 1803339C D3AD8C28 84A24960
	v_mfma_scale_f32_16x16x128_f8f6f4 a[44:47], v[96:99], v[40:43], a[44:47], v156, v153 op_sel_hi:[0,0,0] cbsz:4 blgp:4// 000000003FC0: D3AC7800 1803339C D3AD8C2C 84B25160
	s_waitcnt lgkmcnt(0)                                       // 000000003FD0: BF8CC07F
	s_barrier                                                  // 000000003FD4: BF8A0000
	v_mfma_scale_f32_16x16x128_f8f6f4 a[128:131], v[108:111], v[12:15], a[128:131], v158, v152 op_sel_hi:[0,0,0] cbsz:4 blgp:4// 000000003FD8: D3AC6000 0003319E D3AD8C80 8602196C
	v_mfma_scale_f32_16x16x128_f8f6f4 a[132:135], v[108:111], v[16:19], a[132:135], v158, v152 op_sel_hi:[0,0,0] cbsz:4 blgp:4// 000000003FE8: D3AC7000 0003319E D3AD8C84 8612216C
	s_mov_b32 m0, s65                                          // 000000003FF8: BEFC0041
	buffer_load_dwordx4 v146, s[8:11], 0 offen lds             // 000000003FFC: E05D1000 80020092
	v_mfma_scale_f32_16x16x128_f8f6f4 a[160:163], v[112:115], v[12:15], a[160:163], v158, v152 op_sel_hi:[0,0,0] cbsz:4 blgp:4// 000000004004: D3AC6800 0003319E D3AD8CA0 86821970
	v_mfma_scale_f32_16x16x128_f8f6f4 a[164:167], v[112:115], v[16:19], a[164:167], v158, v152 op_sel_hi:[0,0,0] cbsz:4 blgp:4// 000000004014: D3AC7800 0003319E D3AD8CA4 86922170
	s_add_u32 m0, s95, 0                                       // 000000004024: 807C805F
	buffer_load_dword v162, s[80:83], 0 offen lds              // 000000004028: E0511000 801400A2
	v_add_u32_e32 v162, 0x100, v162                            // 000000004030: 694544FF 00000100
	v_mfma_scale_f32_16x16x128_f8f6f4 a[192:195], v[116:119], v[12:15], a[192:195], v159, v152 op_sel_hi:[0,0,0] cbsz:4 blgp:4// 000000004038: D3AC6000 0003319F D3AD8CC0 87021974
	v_mfma_scale_f32_16x16x128_f8f6f4 a[196:199], v[116:119], v[16:19], a[196:199], v159, v152 op_sel_hi:[0,0,0] cbsz:4 blgp:4// 000000004048: D3AC7000 0003319F D3AD8CC4 87122174
	v_mfma_scale_f32_16x16x128_f8f6f4 a[224:227], v[120:123], v[12:15], a[224:227], v159, v152 op_sel_hi:[0,0,0] cbsz:4 blgp:4// 000000004058: D3AC6800 0003319F D3AD8CE0 87821978
	v_mfma_scale_f32_16x16x128_f8f6f4 a[228:231], v[120:123], v[16:19], a[228:231], v159, v152 op_sel_hi:[0,0,0] cbsz:4 blgp:4// 000000004068: D3AC7800 0003319F D3AD8CE4 87922178
	v_mfma_scale_f32_16x16x128_f8f6f4 a[200:203], v[116:119], v[20:23], a[200:203], v159, v153 op_sel_hi:[0,0,0] cbsz:4 blgp:4// 000000004078: D3AC6000 0003339F D3AD8CC8 87222974
	v_mfma_scale_f32_16x16x128_f8f6f4 a[204:207], v[116:119], v[24:27], a[204:207], v159, v153 op_sel_hi:[0,0,0] cbsz:4 blgp:4// 000000004088: D3AC7000 0003339F D3AD8CCC 87323174
	s_add_u32 m0, 0x1080, s65                                  // 000000004098: 807C41FF 00001080
	buffer_load_dwordx4 v147, s[8:11], 0 offen lds             // 0000000040A0: E05D1000 80020093
	v_mfma_scale_f32_16x16x128_f8f6f4 a[232:235], v[120:123], v[20:23], a[232:235], v159, v153 op_sel_hi:[0,0,0] cbsz:4 blgp:4// 0000000040A8: D3AC6800 0003339F D3AD8CE8 87A22978
	v_mfma_scale_f32_16x16x128_f8f6f4 a[236:239], v[120:123], v[24:27], a[236:239], v159, v153 op_sel_hi:[0,0,0] cbsz:4 blgp:4// 0000000040B8: D3AC7800 0003339F D3AD8CEC 87B23178
	v_mfma_scale_f32_16x16x128_f8f6f4 a[136:139], v[108:111], v[20:23], a[136:139], v158, v153 op_sel_hi:[0,0,0] cbsz:4 blgp:4// 0000000040C8: D3AC6000 0003339E D3AD8C88 8622296C
	v_mfma_scale_f32_16x16x128_f8f6f4 a[140:143], v[108:111], v[24:27], a[140:143], v158, v153 op_sel_hi:[0,0,0] cbsz:4 blgp:4// 0000000040D8: D3AC7000 0003339E D3AD8C8C 8632316C
	v_mfma_scale_f32_16x16x128_f8f6f4 a[168:171], v[112:115], v[20:23], a[168:171], v158, v153 op_sel_hi:[0,0,0] cbsz:4 blgp:4// 0000000040E8: D3AC6800 0003339E D3AD8CA8 86A22970
	v_mfma_scale_f32_16x16x128_f8f6f4 a[172:175], v[112:115], v[24:27], a[172:175], v158, v153 op_sel_hi:[0,0,0] cbsz:4 blgp:4// 0000000040F8: D3AC7800 0003339E D3AD8CAC 86B23170
	v_mfma_scale_f32_16x16x128_f8f6f4 a[128:131], v[124:127], v[28:31], a[128:131], v158, v152 op_sel_hi:[0,0,0] cbsz:4 blgp:4// 000000004108: D3AC6000 1803319E D3AD8C80 8602397C
	v_mfma_scale_f32_16x16x128_f8f6f4 a[132:135], v[124:127], v[32:35], a[132:135], v158, v152 op_sel_hi:[0,0,0] cbsz:4 blgp:4// 000000004118: D3AC7000 1803319E D3AD8C84 8612417C
	s_add_u32 m0, 0x2100, s65                                  // 000000004128: 807C41FF 00002100
	buffer_load_dwordx4 v148, s[8:11], 0 offen lds             // 000000004130: E05D1000 80020094
	v_mfma_scale_f32_16x16x128_f8f6f4 a[160:163], v[128:131], v[28:31], a[160:163], v158, v152 op_sel_hi:[0,0,0] cbsz:4 blgp:4// 000000004138: D3AC6800 1803319E D3AD8CA0 86823980
	v_mfma_scale_f32_16x16x128_f8f6f4 a[164:167], v[128:131], v[32:35], a[164:167], v158, v152 op_sel_hi:[0,0,0] cbsz:4 blgp:4// 000000004148: D3AC7800 1803319E D3AD8CA4 86924180
	v_mfma_scale_f32_16x16x128_f8f6f4 a[192:195], v[132:135], v[28:31], a[192:195], v159, v152 op_sel_hi:[0,0,0] cbsz:4 blgp:4// 000000004158: D3AC6000 1803319F D3AD8CC0 87023984
	v_mfma_scale_f32_16x16x128_f8f6f4 a[196:199], v[132:135], v[32:35], a[196:199], v159, v152 op_sel_hi:[0,0,0] cbsz:4 blgp:4// 000000004168: D3AC7000 1803319F D3AD8CC4 87124184
	v_mfma_scale_f32_16x16x128_f8f6f4 a[224:227], v[136:139], v[28:31], a[224:227], v159, v152 op_sel_hi:[0,0,0] cbsz:4 blgp:4// 000000004178: D3AC6800 1803319F D3AD8CE0 87823988
	v_mfma_scale_f32_16x16x128_f8f6f4 a[228:231], v[136:139], v[32:35], a[228:231], v159, v152 op_sel_hi:[0,0,0] cbsz:4 blgp:4// 000000004188: D3AC7800 1803319F D3AD8CE4 87924188
	v_mfma_scale_f32_16x16x128_f8f6f4 a[200:203], v[132:135], v[36:39], a[200:203], v159, v153 op_sel_hi:[0,0,0] cbsz:4 blgp:4// 000000004198: D3AC6000 1803339F D3AD8CC8 87224984
	v_mfma_scale_f32_16x16x128_f8f6f4 a[204:207], v[132:135], v[40:43], a[204:207], v159, v153 op_sel_hi:[0,0,0] cbsz:4 blgp:4// 0000000041A8: D3AC7000 1803339F D3AD8CCC 87325184
	s_add_u32 m0, 0x3180, s65                                  // 0000000041B8: 807C41FF 00003180
	buffer_load_dwordx4 v149, s[8:11], 0 offen lds             // 0000000041C0: E05D1000 80020095
	v_mfma_scale_f32_16x16x128_f8f6f4 a[232:235], v[136:139], v[36:39], a[232:235], v159, v153 op_sel_hi:[0,0,0] cbsz:4 blgp:4// 0000000041C8: D3AC6800 1803339F D3AD8CE8 87A24988
	s_add_u32 s8, s70, s8                                      // 0000000041D8: 80080846
	s_addc_u32 s9, 0, s9                                       // 0000000041DC: 82090980
	v_mfma_scale_f32_16x16x128_f8f6f4 a[236:239], v[136:139], v[40:43], a[236:239], v159, v153 op_sel_hi:[0,0,0] cbsz:4 blgp:4// 0000000041E0: D3AC7800 1803339F D3AD8CEC 87B25188
	v_mfma_scale_f32_16x16x128_f8f6f4 a[136:139], v[124:127], v[36:39], a[136:139], v158, v153 op_sel_hi:[0,0,0] cbsz:4 blgp:4// 0000000041F0: D3AC6000 1803339E D3AD8C88 8622497C
	v_mfma_scale_f32_16x16x128_f8f6f4 a[140:143], v[124:127], v[40:43], a[140:143], v158, v153 op_sel_hi:[0,0,0] cbsz:4 blgp:4// 000000004200: D3AC7000 1803339E D3AD8C8C 8632517C
	v_mfma_scale_f32_16x16x128_f8f6f4 a[168:171], v[128:131], v[36:39], a[168:171], v158, v153 op_sel_hi:[0,0,0] cbsz:4 blgp:4// 000000004210: D3AC6800 1803339E D3AD8CA8 86A24980
	v_mfma_scale_f32_16x16x128_f8f6f4 a[172:175], v[128:131], v[40:43], a[172:175], v158, v153 op_sel_hi:[0,0,0] cbsz:4 blgp:4// 000000004220: D3AC7800 1803339E D3AD8CAC 86B25180
	v_mfma_scale_f32_16x16x128_f8f6f4 a[16:19], v[76:79], v[44:47], a[16:19], v156, v154 op_sel_hi:[0,0,0] cbsz:4 blgp:4// 000000004230: D3AC6000 0003359C D3AD8C10 8442594C
	v_mfma_scale_f32_16x16x128_f8f6f4 a[20:23], v[76:79], v[48:51], a[20:23], v156, v154 op_sel_hi:[0,0,0] cbsz:4 blgp:4// 000000004240: D3AC7000 0003359C D3AD8C14 8452614C
	s_mov_b32 m0, s58                                          // 000000004250: BEFC003A
	buffer_load_dwordx4 v140, s[12:15], 0 offen lds            // 000000004254: E05D1000 8003008C
	v_mfma_scale_f32_16x16x128_f8f6f4 a[48:51], v[80:83], v[44:47], a[48:51], v156, v154 op_sel_hi:[0,0,0] cbsz:4 blgp:4// 00000000425C: D3AC6800 0003359C D3AD8C30 84C25950
	v_mfma_scale_f32_16x16x128_f8f6f4 a[52:55], v[80:83], v[48:51], a[52:55], v156, v154 op_sel_hi:[0,0,0] cbsz:4 blgp:4// 00000000426C: D3AC7800 0003359C D3AD8C34 84D26150
	s_add_u32 m0, s75, 0x400                                   // 00000000427C: 807CFF4B 00000400
	buffer_load_dword v161, s[76:79], 0 offen lds              // 000000004284: E0511000 801300A1
	v_add_u32_e32 v161, 0x100, v161                            // 00000000428C: 694342FF 00000100
	v_mfma_scale_f32_16x16x128_f8f6f4 a[80:83], v[84:87], v[44:47], a[80:83], v157, v154 op_sel_hi:[0,0,0] cbsz:4 blgp:4// 000000004294: D3AC6000 0003359D D3AD8C50 85425954
	v_mfma_scale_f32_16x16x128_f8f6f4 a[84:87], v[84:87], v[48:51], a[84:87], v157, v154 op_sel_hi:[0,0,0] cbsz:4 blgp:4// 0000000042A4: D3AC7000 0003359D D3AD8C54 85526154
	v_mfma_scale_f32_16x16x128_f8f6f4 a[112:115], v[88:91], v[44:47], a[112:115], v157, v154 op_sel_hi:[0,0,0] cbsz:4 blgp:4// 0000000042B4: D3AC6800 0003359D D3AD8C70 85C25958
	v_mfma_scale_f32_16x16x128_f8f6f4 a[116:119], v[88:91], v[48:51], a[116:119], v157, v154 op_sel_hi:[0,0,0] cbsz:4 blgp:4// 0000000042C4: D3AC7800 0003359D D3AD8C74 85D26158
	v_mfma_scale_f32_16x16x128_f8f6f4 a[88:91], v[84:87], v[52:55], a[88:91], v157, v155 op_sel_hi:[0,0,0] cbsz:4 blgp:4// 0000000042D4: D3AC6000 0003379D D3AD8C58 85626954
	v_mfma_scale_f32_16x16x128_f8f6f4 a[92:95], v[84:87], v[56:59], a[92:95], v157, v155 op_sel_hi:[0,0,0] cbsz:4 blgp:4// 0000000042E4: D3AC7000 0003379D D3AD8C5C 85727154
	s_add_u32 m0, 0x1080, s58                                  // 0000000042F4: 807C3AFF 00001080
	buffer_load_dwordx4 v141, s[12:15], 0 offen lds            // 0000000042FC: E05D1000 8003008D
	v_mfma_scale_f32_16x16x128_f8f6f4 a[120:123], v[88:91], v[52:55], a[120:123], v157, v155 op_sel_hi:[0,0,0] cbsz:4 blgp:4// 000000004304: D3AC6800 0003379D D3AD8C78 85E26958
	v_mfma_scale_f32_16x16x128_f8f6f4 a[124:127], v[88:91], v[56:59], a[124:127], v157, v155 op_sel_hi:[0,0,0] cbsz:4 blgp:4// 000000004314: D3AC7800 0003379D D3AD8C7C 85F27158
	v_mfma_scale_f32_16x16x128_f8f6f4 a[24:27], v[76:79], v[52:55], a[24:27], v156, v155 op_sel_hi:[0,0,0] cbsz:4 blgp:4// 000000004324: D3AC6000 0003379C D3AD8C18 8462694C
	v_mfma_scale_f32_16x16x128_f8f6f4 a[28:31], v[76:79], v[56:59], a[28:31], v156, v155 op_sel_hi:[0,0,0] cbsz:4 blgp:4// 000000004334: D3AC7000 0003379C D3AD8C1C 8472714C
	v_mfma_scale_f32_16x16x128_f8f6f4 a[56:59], v[80:83], v[52:55], a[56:59], v156, v155 op_sel_hi:[0,0,0] cbsz:4 blgp:4// 000000004344: D3AC6800 0003379C D3AD8C38 84E26950
	v_mfma_scale_f32_16x16x128_f8f6f4 a[60:63], v[80:83], v[56:59], a[60:63], v156, v155 op_sel_hi:[0,0,0] cbsz:4 blgp:4// 000000004354: D3AC7800 0003379C D3AD8C3C 84F27150
	v_mfma_scale_f32_16x16x128_f8f6f4 a[16:19], v[92:95], v[60:63], a[16:19], v156, v154 op_sel_hi:[0,0,0] cbsz:4 blgp:4// 000000004364: D3AC6000 1803359C D3AD8C10 8442795C
	v_mfma_scale_f32_16x16x128_f8f6f4 a[20:23], v[92:95], v[64:67], a[20:23], v156, v154 op_sel_hi:[0,0,0] cbsz:4 blgp:4// 000000004374: D3AC7000 1803359C D3AD8C14 8452815C
	s_add_u32 m0, 0x2100, s58                                  // 000000004384: 807C3AFF 00002100
	buffer_load_dwordx4 v142, s[12:15], 0 offen lds            // 00000000438C: E05D1000 8003008E
	v_mfma_scale_f32_16x16x128_f8f6f4 a[48:51], v[96:99], v[60:63], a[48:51], v156, v154 op_sel_hi:[0,0,0] cbsz:4 blgp:4// 000000004394: D3AC6800 1803359C D3AD8C30 84C27960
	v_mfma_scale_f32_16x16x128_f8f6f4 a[52:55], v[96:99], v[64:67], a[52:55], v156, v154 op_sel_hi:[0,0,0] cbsz:4 blgp:4// 0000000043A4: D3AC7800 1803359C D3AD8C34 84D28160
	v_mfma_scale_f32_16x16x128_f8f6f4 a[80:83], v[100:103], v[60:63], a[80:83], v157, v154 op_sel_hi:[0,0,0] cbsz:4 blgp:4// 0000000043B4: D3AC6000 1803359D D3AD8C50 85427964
	v_mfma_scale_f32_16x16x128_f8f6f4 a[84:87], v[100:103], v[64:67], a[84:87], v157, v154 op_sel_hi:[0,0,0] cbsz:4 blgp:4// 0000000043C4: D3AC7000 1803359D D3AD8C54 85528164
	v_mfma_scale_f32_16x16x128_f8f6f4 a[112:115], v[104:107], v[60:63], a[112:115], v157, v154 op_sel_hi:[0,0,0] cbsz:4 blgp:4// 0000000043D4: D3AC6800 1803359D D3AD8C70 85C27968
	v_mfma_scale_f32_16x16x128_f8f6f4 a[116:119], v[104:107], v[64:67], a[116:119], v157, v154 op_sel_hi:[0,0,0] cbsz:4 blgp:4// 0000000043E4: D3AC7800 1803359D D3AD8C74 85D28168
	v_mfma_scale_f32_16x16x128_f8f6f4 a[88:91], v[100:103], v[68:71], a[88:91], v157, v155 op_sel_hi:[0,0,0] cbsz:4 blgp:4// 0000000043F4: D3AC6000 1803379D D3AD8C58 85628964
	v_mfma_scale_f32_16x16x128_f8f6f4 a[92:95], v[100:103], v[72:75], a[92:95], v157, v155 op_sel_hi:[0,0,0] cbsz:4 blgp:4// 000000004404: D3AC7000 1803379D D3AD8C5C 85729164
	s_add_u32 m0, 0x3180, s58                                  // 000000004414: 807C3AFF 00003180
	buffer_load_dwordx4 v143, s[12:15], 0 offen lds            // 00000000441C: E05D1000 8003008F
	v_mfma_scale_f32_16x16x128_f8f6f4 a[120:123], v[104:107], v[68:71], a[120:123], v157, v155 op_sel_hi:[0,0,0] cbsz:4 blgp:4// 000000004424: D3AC6800 1803379D D3AD8C78 85E28968
	s_add_u32 s31, 0x300, s33                                  // 000000004434: 801F21FF 00000300
	s_cmp_lt_u32 s31, s34                                      // 00000000443C: BF0A221F
	s_cselect_b32 s61, s61, 0                                  // 000000004440: 853D803D
	s_cselect_b32 s21, s21, 0                                  // 000000004444: 85158015
	v_mfma_scale_f32_16x16x128_f8f6f4 a[124:127], v[104:107], v[72:75], a[124:127], v157, v155 op_sel_hi:[0,0,0] cbsz:4 blgp:4// 000000004448: D3AC7800 1803379D D3AD8C7C 85F29168
	s_add_u32 s12, s61, s12                                    // 000000004458: 800C0C3D
	s_addc_u32 s13, 0, s13                                     // 00000000445C: 820D0D80
	v_mfma_scale_f32_16x16x128_f8f6f4 a[24:27], v[92:95], v[68:71], a[24:27], v156, v155 op_sel_hi:[0,0,0] cbsz:4 blgp:4// 000000004460: D3AC6000 1803379C D3AD8C18 8462895C
	s_sub_u32 s14, s14, s21                                    // 000000004470: 808E150E
	v_mfma_scale_f32_16x16x128_f8f6f4 a[28:31], v[92:95], v[72:75], a[28:31], v156, v155 op_sel_hi:[0,0,0] cbsz:4 blgp:4// 000000004474: D3AC7000 1803379C D3AD8C1C 8472915C
	v_mfma_scale_f32_16x16x128_f8f6f4 a[56:59], v[96:99], v[68:71], a[56:59], v156, v155 op_sel_hi:[0,0,0] cbsz:4 blgp:4// 000000004484: D3AC6800 1803379C D3AD8C38 84E28960
	v_mfma_scale_f32_16x16x128_f8f6f4 a[60:63], v[96:99], v[72:75], a[60:63], v156, v155 op_sel_hi:[0,0,0] cbsz:4 blgp:4// 000000004494: D3AC7800 1803379C D3AD8C3C 84F29160
	s_waitcnt vmcnt(15) lgkmcnt(0)                             // 0000000044A4: BF8C007F
	s_barrier                                                  // 0000000044A8: BF8A0000
	v_mfma_scale_f32_16x16x128_f8f6f4 a[144:147], v[108:111], v[44:47], a[144:147], v158, v154 op_sel_hi:[0,0,0] cbsz:4 blgp:4// 0000000044AC: D3AC6000 0003359E D3AD8C90 8642596C
	ds_read_b128 v[12:15], v144                                // 0000000044BC: D9FE0000 0C000090
	ds_read_b128 v[28:31], v144 offset:64                      // 0000000044C4: D9FE0040 1C000090
	v_mfma_scale_f32_16x16x128_f8f6f4 a[148:151], v[108:111], v[48:51], a[148:151], v158, v154 op_sel_hi:[0,0,0] cbsz:4 blgp:4// 0000000044CC: D3AC7000 0003359E D3AD8C94 8652616C
	s_mov_b32 m0, s66                                          // 0000000044DC: BEFC0042
	buffer_load_dwordx4 v146, s[8:11], 0 offen lds             // 0000000044E0: E05D1000 80020092
	v_mfma_scale_f32_16x16x128_f8f6f4 a[176:179], v[112:115], v[44:47], a[176:179], v158, v154 op_sel_hi:[0,0,0] cbsz:4 blgp:4// 0000000044E8: D3AC6800 0003359E D3AD8CB0 86C25970
	ds_read_b128 v[16:19], v144 offset:512                     // 0000000044F8: D9FE0200 10000090
	ds_read_b128 v[32:35], v144 offset:576                     // 000000004500: D9FE0240 20000090
	v_mfma_scale_f32_16x16x128_f8f6f4 a[180:183], v[112:115], v[48:51], a[180:183], v158, v154 op_sel_hi:[0,0,0] cbsz:4 blgp:4// 000000004508: D3AC7800 0003359E D3AD8CB4 86D26170
	ds_read_b32 v152, v164 offset:2048                         // 000000004518: D86C0800 980000A4
	v_mfma_scale_f32_16x16x128_f8f6f4 a[208:211], v[116:119], v[44:47], a[208:211], v159, v154 op_sel_hi:[0,0,0] cbsz:4 blgp:4// 000000004520: D3AC6000 0003359F D3AD8CD0 87425974
	ds_read_b128 v[20:23], v144 offset:4224                    // 000000004530: D9FE1080 14000090
	ds_read_b128 v[36:39], v144 offset:4288                    // 000000004538: D9FE10C0 24000090
	v_mfma_scale_f32_16x16x128_f8f6f4 a[212:215], v[116:119], v[48:51], a[212:215], v159, v154 op_sel_hi:[0,0,0] cbsz:4 blgp:4// 000000004540: D3AC7000 0003359F D3AD8CD4 87526174
	ds_read_b32 v153, v164 offset:2304                         // 000000004550: D86C0900 990000A4
	v_mfma_scale_f32_16x16x128_f8f6f4 a[240:243], v[120:123], v[44:47], a[240:243], v159, v154 op_sel_hi:[0,0,0] cbsz:4 blgp:4// 000000004558: D3AC6800 0003359F D3AD8CF0 87C25978
	ds_read_b128 v[24:27], v144 offset:4736                    // 000000004568: D9FE1280 18000090
	ds_read_b128 v[40:43], v144 offset:4800                    // 000000004570: D9FE12C0 28000090
	v_mfma_scale_f32_16x16x128_f8f6f4 a[244:247], v[120:123], v[48:51], a[244:247], v159, v154 op_sel_hi:[0,0,0] cbsz:4 blgp:4// 000000004578: D3AC7800 0003359F D3AD8CF4 87D26178
	ds_read_b32 v156, v165 offset:2048                         // 000000004588: D86C0800 9C0000A5
	v_mfma_scale_f32_16x16x128_f8f6f4 a[216:219], v[116:119], v[52:55], a[216:219], v159, v155 op_sel_hi:[0,0,0] cbsz:4 blgp:4// 000000004590: D3AC6000 0003379F D3AD8CD8 87626974
	ds_read_b128 v[76:79], v150                                // 0000000045A0: D9FE0000 4C000096
	ds_read_b128 v[92:95], v150 offset:64                      // 0000000045A8: D9FE0040 5C000096
	v_mfma_scale_f32_16x16x128_f8f6f4 a[220:223], v[116:119], v[56:59], a[220:223], v159, v155 op_sel_hi:[0,0,0] cbsz:4 blgp:4// 0000000045B0: D3AC3000 0003379F D3AD8CDC 87727174
	s_add_u32 m0, 0x1080, s66                                  // 0000000045C0: 807C42FF 00001080
	buffer_load_dwordx4 v147, s[8:11], 0 offen lds             // 0000000045C8: E05D1000 80020093
	v_mfma_scale_f32_16x16x128_f8f6f4 a[248:251], v[120:123], v[52:55], a[248:251], v159, v155 op_sel_hi:[0,0,0] cbsz:4 blgp:4// 0000000045D0: D3AC6800 0003379F D3AD8CF8 87E26978
	ds_read_b128 v[80:83], v150 offset:512                     // 0000000045E0: D9FE0200 50000096
	ds_read_b128 v[96:99], v150 offset:576                     // 0000000045E8: D9FE0240 60000096
	v_mfma_scale_f32_16x16x128_f8f6f4 a[252:255], v[120:123], v[56:59], a[252:255], v159, v155 op_sel_hi:[0,0,0] cbsz:4 blgp:4// 0000000045F0: D3AC7800 0003379F D3AD8CFC 87F27178
	ds_read_b32 v157, v165 offset:2304                         // 000000004600: D86C0900 9D0000A5
	v_mfma_scale_f32_16x16x128_f8f6f4 a[152:155], v[108:111], v[52:55], a[152:155], v158, v155 op_sel_hi:[0,0,0] cbsz:4 blgp:4// 000000004608: D3AC6000 0003379E D3AD8C98 8662696C
	ds_read_b128 v[84:87], v150 offset:4224                    // 000000004618: D9FE1080 54000096
	ds_read_b128 v[100:103], v150 offset:4288                  // 000000004620: D9FE10C0 64000096
	v_mfma_scale_f32_16x16x128_f8f6f4 a[156:159], v[108:111], v[56:59], a[156:159], v158, v155 op_sel_hi:[0,0,0] cbsz:4 blgp:4// 000000004628: D3AC7000 0003379E D3AD8C9C 8672716C
	s_add_u32 m0, s95, 0x400                                   // 000000004638: 807CFF5F 00000400
	buffer_load_dword v163, s[80:83], 0 offen lds              // 000000004640: E0511000 801400A3
	v_add_u32_e32 v163, 0x100, v163                            // 000000004648: 694746FF 00000100
	v_mfma_scale_f32_16x16x128_f8f6f4 a[184:187], v[112:115], v[52:55], a[184:187], v158, v155 op_sel_hi:[0,0,0] cbsz:4 blgp:4// 000000004650: D3AC6800 0003379E D3AD8CB8 86E26970
	ds_read_b128 v[88:91], v150 offset:4736                    // 000000004660: D9FE1280 58000096
	ds_read_b128 v[104:107], v150 offset:4800                  // 000000004668: D9FE12C0 68000096
	v_mfma_scale_f32_16x16x128_f8f6f4 a[188:191], v[112:115], v[56:59], a[188:191], v158, v155 op_sel_hi:[0,0,0] cbsz:4 blgp:4// 000000004670: D3AC7800 0003379E D3AD8CBC 86F27170
	v_mfma_scale_f32_16x16x128_f8f6f4 a[144:147], v[124:127], v[60:63], a[144:147], v158, v154 op_sel_hi:[0,0,0] cbsz:4 blgp:4// 000000004680: D3AC6000 1803359E D3AD8C90 8642797C
	v_mfma_scale_f32_16x16x128_f8f6f4 a[148:151], v[124:127], v[64:67], a[148:151], v158, v154 op_sel_hi:[0,0,0] cbsz:4 blgp:4// 000000004690: D3AC7000 1803359E D3AD8C94 8652817C
	s_add_u32 m0, 0x2100, s66                                  // 0000000046A0: 807C42FF 00002100
	buffer_load_dwordx4 v148, s[8:11], 0 offen lds             // 0000000046A8: E05D1000 80020094
	v_mfma_scale_f32_16x16x128_f8f6f4 a[176:179], v[128:131], v[60:63], a[176:179], v158, v154 op_sel_hi:[0,0,0] cbsz:4 blgp:4// 0000000046B0: D3AC6800 1803359E D3AD8CB0 86C27980
	v_mfma_scale_f32_16x16x128_f8f6f4 a[180:183], v[128:131], v[64:67], a[180:183], v158, v154 op_sel_hi:[0,0,0] cbsz:4 blgp:4// 0000000046C0: D3AC7800 1803359E D3AD8CB4 86D28180
	v_mfma_scale_f32_16x16x128_f8f6f4 a[208:211], v[132:135], v[60:63], a[208:211], v159, v154 op_sel_hi:[0,0,0] cbsz:4 blgp:4// 0000000046D0: D3AC6000 1803359F D3AD8CD0 87427984
	v_mfma_scale_f32_16x16x128_f8f6f4 a[212:215], v[132:135], v[64:67], a[212:215], v159, v154 op_sel_hi:[0,0,0] cbsz:4 blgp:4// 0000000046E0: D3AC7000 1803359F D3AD8CD4 87528184
	v_mfma_scale_f32_16x16x128_f8f6f4 a[240:243], v[136:139], v[60:63], a[240:243], v159, v154 op_sel_hi:[0,0,0] cbsz:4 blgp:4// 0000000046F0: D3AC6800 1803359F D3AD8CF0 87C27988
	v_mfma_scale_f32_16x16x128_f8f6f4 a[244:247], v[136:139], v[64:67], a[244:247], v159, v154 op_sel_hi:[0,0,0] cbsz:4 blgp:4// 000000004700: D3AC7800 1803359F D3AD8CF4 87D28188
	v_mfma_scale_f32_16x16x128_f8f6f4 a[216:219], v[132:135], v[68:71], a[216:219], v159, v155 op_sel_hi:[0,0,0] cbsz:4 blgp:4// 000000004710: D3AC6000 1803379F D3AD8CD8 87628984
	v_mfma_scale_f32_16x16x128_f8f6f4 a[220:223], v[132:135], v[72:75], a[220:223], v159, v155 op_sel_hi:[0,0,0] cbsz:4 blgp:4// 000000004720: D3AC7000 1803379F D3AD8CDC 87729184
	s_add_u32 m0, 0x3180, s66                                  // 000000004730: 807C42FF 00003180
	buffer_load_dwordx4 v149, s[8:11], 0 offen lds             // 000000004738: E05D1000 80020095
	v_mfma_scale_f32_16x16x128_f8f6f4 a[248:251], v[136:139], v[68:71], a[248:251], v159, v155 op_sel_hi:[0,0,0] cbsz:4 blgp:4// 000000004740: D3AC6800 1803379F D3AD8CF8 87E28988
	s_add_u32 s31, 0x300, s33                                  // 000000004750: 801F21FF 00000300
	s_cmp_lt_u32 s31, s34                                      // 000000004758: BF0A221F
	s_cselect_b32 s69, s69, 0                                  // 00000000475C: 85458045
	v_mfma_scale_f32_16x16x128_f8f6f4 a[252:255], v[136:139], v[72:75], a[252:255], v159, v155 op_sel_hi:[0,0,0] cbsz:4 blgp:4// 000000004760: D3AC7800 1803379F D3AD8CFC 87F29188
	s_add_u32 s73, s73, s69                                    // 000000004770: 80494549
	s_addc_u32 s74, 0, s74                                     // 000000004774: 824A4A80
	v_mfma_scale_f32_16x16x128_f8f6f4 a[152:155], v[124:127], v[68:71], a[152:155], v158, v155 op_sel_hi:[0,0,0] cbsz:4 blgp:4// 000000004778: D3AC6000 1803379E D3AD8C98 8662897C
	s_mov_b32 s8, s73                                          // 000000004788: BE880049
	s_mov_b32 s9, s74                                          // 00000000478C: BE89004A
	v_mfma_scale_f32_16x16x128_f8f6f4 a[156:159], v[124:127], v[72:75], a[156:159], v158, v155 op_sel_hi:[0,0,0] cbsz:4 blgp:4// 000000004790: D3AC7000 1803379E D3AD8C9C 8672917C
	v_mfma_scale_f32_16x16x128_f8f6f4 a[184:187], v[128:131], v[68:71], a[184:187], v158, v155 op_sel_hi:[0,0,0] cbsz:4 blgp:4// 0000000047A0: D3AC6800 1803379E D3AD8CB8 86E28980
	v_mfma_scale_f32_16x16x128_f8f6f4 a[188:191], v[128:131], v[72:75], a[188:191], v158, v155 op_sel_hi:[0,0,0] cbsz:4 blgp:4// 0000000047B0: D3AC7800 1803379E D3AD8CBC 86F29180
	s_addk_i32 s33, 0x100                                      // 0000000047C0: B7210100
	s_cmp_lt_i32 s33, s34                                      // 0000000047C4: BF042221
	s_cbranch_scc0 label_0F7F                                  // 0000000047C8: BF84084C
	s_waitcnt lgkmcnt(0)                                       // 0000000047CC: BF8CC07F
	s_barrier                                                  // 0000000047D0: BF8A0000
	v_mfma_scale_f32_16x16x128_f8f6f4 a[0:3], v[76:79], v[12:15], a[0:3], v156, v152 op_sel_hi:[0,0,0] cbsz:4 blgp:4// 0000000047D4: D3AC6000 0003319C D3AD8C00 8402194C
	ds_read_b128 v[44:47], v144 offset:16896                   // 0000000047E4: D9FE4200 2C000090
	ds_read_b128 v[60:63], v144 offset:16960                   // 0000000047EC: D9FE4240 3C000090
	v_mfma_scale_f32_16x16x128_f8f6f4 a[4:7], v[76:79], v[16:19], a[4:7], v156, v152 op_sel_hi:[0,0,0] cbsz:4 blgp:4// 0000000047F4: D3AC7000 0003319C D3AD8C04 8412214C
	s_mov_b32 m0, s59                                          // 000000004804: BEFC003B
	buffer_load_dwordx4 v140, s[4:7], 0 offen lds              // 000000004808: E05D1000 8001008C
	v_mfma_scale_f32_16x16x128_f8f6f4 a[32:35], v[80:83], v[12:15], a[32:35], v156, v152 op_sel_hi:[0,0,0] cbsz:4 blgp:4// 000000004810: D3AC6800 0003319C D3AD8C20 84821950
	ds_read_b128 v[48:51], v144 offset:17408                   // 000000004820: D9FE4400 30000090
	ds_read_b128 v[64:67], v144 offset:17472                   // 000000004828: D9FE4440 40000090
	v_mfma_scale_f32_16x16x128_f8f6f4 a[36:39], v[80:83], v[16:19], a[36:39], v156, v152 op_sel_hi:[0,0,0] cbsz:4 blgp:4// 000000004830: D3AC7800 0003319C D3AD8C24 84922150
	ds_read_b32 v154, v164 offset:3072                         // 000000004840: D86C0C00 9A0000A4
	v_mfma_scale_f32_16x16x128_f8f6f4 a[64:67], v[84:87], v[12:15], a[64:67], v157, v152 op_sel_hi:[0,0,0] cbsz:4 blgp:4// 000000004848: D3AC6000 0003319D D3AD8C40 85021954
	ds_read_b128 v[52:55], v144 offset:21120                   // 000000004858: D9FE5280 34000090
	ds_read_b128 v[68:71], v144 offset:21184                   // 000000004860: D9FE52C0 44000090
	v_mfma_scale_f32_16x16x128_f8f6f4 a[68:71], v[84:87], v[16:19], a[68:71], v157, v152 op_sel_hi:[0,0,0] cbsz:4 blgp:4// 000000004868: D3AC7000 0003319D D3AD8C44 85122154
	ds_read_b32 v155, v164 offset:3328                         // 000000004878: D86C0D00 9B0000A4
	v_mfma_scale_f32_16x16x128_f8f6f4 a[96:99], v[88:91], v[12:15], a[96:99], v157, v152 op_sel_hi:[0,0,0] cbsz:4 blgp:4// 000000004880: D3AC4800 0003319D D3AD8C60 85821958
	ds_read_b128 v[56:59], v144 offset:21632                   // 000000004890: D9FE5480 38000090
	ds_read_b128 v[72:75], v144 offset:21696                   // 000000004898: D9FE54C0 48000090
	v_mov_b32_e32 v144, v145                                   // 0000000048A0: 7F200391
	v_mfma_scale_f32_16x16x128_f8f6f4 a[100:103], v[88:91], v[16:19], a[100:103], v157, v152 op_sel_hi:[0,0,0] cbsz:4 blgp:4// 0000000048A4: D3AC7800 0003319D D3AD8C64 85922158
	ds_read_b32 v158, v165 offset:3072                         // 0000000048B4: D86C0C00 9E0000A5
	v_mfma_scale_f32_16x16x128_f8f6f4 a[72:75], v[84:87], v[20:23], a[72:75], v157, v153 op_sel_hi:[0,0,0] cbsz:4 blgp:4// 0000000048BC: D3AC6000 0003339D D3AD8C48 85222954
	ds_read_b128 v[108:111], v150 offset:16896                 // 0000000048CC: D9FE4200 6C000096
	ds_read_b128 v[124:127], v150 offset:16960                 // 0000000048D4: D9FE4240 7C000096
	v_mfma_scale_f32_16x16x128_f8f6f4 a[76:79], v[84:87], v[24:27], a[76:79], v157, v153 op_sel_hi:[0,0,0] cbsz:4 blgp:4// 0000000048DC: D3AC7000 0003339D D3AD8C4C 85323154
	s_add_u32 m0, 0x1080, s59                                  // 0000000048EC: 807C3BFF 00001080
	buffer_load_dwordx4 v141, s[4:7], 0 offen lds              // 0000000048F4: E05D1000 8001008D
	v_mfma_scale_f32_16x16x128_f8f6f4 a[104:107], v[88:91], v[20:23], a[104:107], v157, v153 op_sel_hi:[0,0,0] cbsz:4 blgp:4// 0000000048FC: D3AC6800 0003339D D3AD8C68 85A22958
	ds_read_b128 v[112:115], v150 offset:17408                 // 00000000490C: D9FE4400 70000096
	ds_read_b128 v[128:131], v150 offset:17472                 // 000000004914: D9FE4440 80000096
	v_mfma_scale_f32_16x16x128_f8f6f4 a[108:111], v[88:91], v[24:27], a[108:111], v157, v153 op_sel_hi:[0,0,0] cbsz:4 blgp:4// 00000000491C: D3AC7800 0003339D D3AD8C6C 85B23158
	ds_read_b32 v159, v165 offset:3328                         // 00000000492C: D86C0D00 9F0000A5
	v_mfma_scale_f32_16x16x128_f8f6f4 a[8:11], v[76:79], v[20:23], a[8:11], v156, v153 op_sel_hi:[0,0,0] cbsz:4 blgp:4// 000000004934: D3AC6000 0003339C D3AD8C08 8422294C
	ds_read_b128 v[116:119], v150 offset:21120                 // 000000004944: D9FE5280 74000096
	ds_read_b128 v[132:135], v150 offset:21184                 // 00000000494C: D9FE52C0 84000096
	v_mfma_scale_f32_16x16x128_f8f6f4 a[12:15], v[76:79], v[24:27], a[12:15], v156, v153 op_sel_hi:[0,0,0] cbsz:4 blgp:4// 000000004954: D3AC5000 0003339C D3AD8C0C 8432314C
	s_add_u32 m0, s75, 0x800                                   // 000000004964: 807CFF4B 00000800
	buffer_load_dword v160, s[76:79], 0 offen lds              // 00000000496C: E0511000 801300A0
	v_add_u32_e32 v160, 0x100, v160                            // 000000004974: 694140FF 00000100
	v_mfma_scale_f32_16x16x128_f8f6f4 a[40:43], v[80:83], v[20:23], a[40:43], v156, v153 op_sel_hi:[0,0,0] cbsz:4 blgp:4// 00000000497C: D3AC6800 0003339C D3AD8C28 84A22950
	ds_read_b128 v[120:123], v150 offset:21632                 // 00000000498C: D9FE5480 78000096
	ds_read_b128 v[136:139], v150 offset:21696                 // 000000004994: D9FE54C0 88000096
	v_mov_b32_e32 v150, v151                                   // 00000000499C: 7F2C0397
	v_mfma_scale_f32_16x16x128_f8f6f4 a[44:47], v[80:83], v[24:27], a[44:47], v156, v153 op_sel_hi:[0,0,0] cbsz:4 blgp:4// 0000000049A0: D3AC7800 0003339C D3AD8C2C 84B23150
	v_mfma_scale_f32_16x16x128_f8f6f4 a[0:3], v[92:95], v[28:31], a[0:3], v156, v152 op_sel_hi:[0,0,0] cbsz:4 blgp:4// 0000000049B0: D3AC6000 1803319C D3AD8C00 8402395C
	v_mfma_scale_f32_16x16x128_f8f6f4 a[4:7], v[92:95], v[32:35], a[4:7], v156, v152 op_sel_hi:[0,0,0] cbsz:4 blgp:4// 0000000049C0: D3AC7000 1803319C D3AD8C04 8412415C
	s_add_u32 m0, 0x2100, s59                                  // 0000000049D0: 807C3BFF 00002100
	buffer_load_dwordx4 v142, s[4:7], 0 offen lds              // 0000000049D8: E05D1000 8001008E
	v_mfma_scale_f32_16x16x128_f8f6f4 a[32:35], v[96:99], v[28:31], a[32:35], v156, v152 op_sel_hi:[0,0,0] cbsz:4 blgp:4// 0000000049E0: D3AC4800 1803319C D3AD8C20 84823960
	v_mfma_scale_f32_16x16x128_f8f6f4 a[36:39], v[96:99], v[32:35], a[36:39], v156, v152 op_sel_hi:[0,0,0] cbsz:4 blgp:4// 0000000049F0: D3AC7800 1803319C D3AD8C24 84924160
	v_mfma_scale_f32_16x16x128_f8f6f4 a[64:67], v[100:103], v[28:31], a[64:67], v157, v152 op_sel_hi:[0,0,0] cbsz:4 blgp:4// 000000004A00: D3AC6000 1803319D D3AD8C40 85023964
	v_mfma_scale_f32_16x16x128_f8f6f4 a[68:71], v[100:103], v[32:35], a[68:71], v157, v152 op_sel_hi:[0,0,0] cbsz:4 blgp:4// 000000004A10: D3AC5000 1803319D D3AD8C44 85124164
	v_mfma_scale_f32_16x16x128_f8f6f4 a[96:99], v[104:107], v[28:31], a[96:99], v157, v152 op_sel_hi:[0,0,0] cbsz:4 blgp:4// 000000004A20: D3AC4800 1803319D D3AD8C60 85823968
	v_mfma_scale_f32_16x16x128_f8f6f4 a[100:103], v[104:107], v[32:35], a[100:103], v157, v152 op_sel_hi:[0,0,0] cbsz:4 blgp:4// 000000004A30: D3AC5800 1803319D D3AD8C64 85924168
	v_mfma_scale_f32_16x16x128_f8f6f4 a[72:75], v[100:103], v[36:39], a[72:75], v157, v153 op_sel_hi:[0,0,0] cbsz:4 blgp:4// 000000004A40: D3AC4000 1803339D D3AD8C48 85224964
	v_mfma_scale_f32_16x16x128_f8f6f4 a[76:79], v[100:103], v[40:43], a[76:79], v157, v153 op_sel_hi:[0,0,0] cbsz:4 blgp:4// 000000004A50: D3AC5000 1803339D D3AD8C4C 85325164
	s_add_u32 m0, 0x3180, s59                                  // 000000004A60: 807C3BFF 00003180
	buffer_load_dwordx4 v143, s[4:7], 0 offen lds              // 000000004A68: E05D1000 8001008F
	v_mfma_scale_f32_16x16x128_f8f6f4 a[104:107], v[104:107], v[36:39], a[104:107], v157, v153 op_sel_hi:[0,0,0] cbsz:4 blgp:4// 000000004A70: D3AC6800 1803339D D3AD8C68 85A24968
	s_add_u32 s4, s61, s4                                      // 000000004A80: 8004043D
	s_addc_u32 s5, 0, s5                                       // 000000004A84: 82050580
	s_sub_u32 s6, s6, s61                                      // 000000004A88: 80863D06
	v_mfma_scale_f32_16x16x128_f8f6f4 a[108:111], v[104:107], v[40:43], a[108:111], v157, v153 op_sel_hi:[0,0,0] cbsz:4 blgp:4// 000000004A8C: D3AC7800 1803339D D3AD8C6C 85B25168
	v_mfma_scale_f32_16x16x128_f8f6f4 a[8:11], v[92:95], v[36:39], a[8:11], v156, v153 op_sel_hi:[0,0,0] cbsz:4 blgp:4// 000000004A9C: D3AC4000 1803339C D3AD8C08 8422495C
	v_mfma_scale_f32_16x16x128_f8f6f4 a[12:15], v[92:95], v[40:43], a[12:15], v156, v153 op_sel_hi:[0,0,0] cbsz:4 blgp:4// 000000004AAC: D3AC5000 1803339C D3AD8C0C 8432515C
	v_mfma_scale_f32_16x16x128_f8f6f4 a[40:43], v[96:99], v[36:39], a[40:43], v156, v153 op_sel_hi:[0,0,0] cbsz:4 blgp:4// 000000004ABC: D3AC4800 1803339C D3AD8C28 84A24960
	v_mfma_scale_f32_16x16x128_f8f6f4 a[44:47], v[96:99], v[40:43], a[44:47], v156, v153 op_sel_hi:[0,0,0] cbsz:4 blgp:4// 000000004ACC: D3AC5800 1803339C D3AD8C2C 84B25160
	s_waitcnt lgkmcnt(0)                                       // 000000004ADC: BF8CC07F
	s_barrier                                                  // 000000004AE0: BF8A0000
	v_mfma_scale_f32_16x16x128_f8f6f4 a[128:131], v[108:111], v[12:15], a[128:131], v158, v152 op_sel_hi:[0,0,0] cbsz:4 blgp:4// 000000004AE4: D3AC6000 0003319E D3AD8C80 8602196C
	v_mfma_scale_f32_16x16x128_f8f6f4 a[132:135], v[108:111], v[16:19], a[132:135], v158, v152 op_sel_hi:[0,0,0] cbsz:4 blgp:4// 000000004AF4: D3AC7000 0003319E D3AD8C84 8612216C
	s_mov_b32 m0, s67                                          // 000000004B04: BEFC0043
	buffer_load_dwordx4 v146, s[8:11], 0 offen lds             // 000000004B08: E05D1000 80020092
	v_mfma_scale_f32_16x16x128_f8f6f4 a[160:163], v[112:115], v[12:15], a[160:163], v158, v152 op_sel_hi:[0,0,0] cbsz:4 blgp:4// 000000004B10: D3AC6800 0003319E D3AD8CA0 86821970
	v_mfma_scale_f32_16x16x128_f8f6f4 a[164:167], v[112:115], v[16:19], a[164:167], v158, v152 op_sel_hi:[0,0,0] cbsz:4 blgp:4// 000000004B20: D3AC7800 0003319E D3AD8CA4 86922170
	s_add_u32 m0, s95, 0x800                                   // 000000004B30: 807CFF5F 00000800
	buffer_load_dword v162, s[80:83], 0 offen lds              // 000000004B38: E0511000 801400A2
	v_add_u32_e32 v162, 0x100, v162                            // 000000004B40: 694544FF 00000100
	v_mfma_scale_f32_16x16x128_f8f6f4 a[192:195], v[116:119], v[12:15], a[192:195], v159, v152 op_sel_hi:[0,0,0] cbsz:4 blgp:4// 000000004B48: D3AC6000 0003319F D3AD8CC0 87021974
	v_mfma_scale_f32_16x16x128_f8f6f4 a[196:199], v[116:119], v[16:19], a[196:199], v159, v152 op_sel_hi:[0,0,0] cbsz:4 blgp:4// 000000004B58: D3AC5000 0003319F D3AD8CC4 87122174
	v_mfma_scale_f32_16x16x128_f8f6f4 a[224:227], v[120:123], v[12:15], a[224:227], v159, v152 op_sel_hi:[0,0,0] cbsz:4 blgp:4// 000000004B68: D3AC6800 0003319F D3AD8CE0 87821978
	v_mfma_scale_f32_16x16x128_f8f6f4 a[228:231], v[120:123], v[16:19], a[228:231], v159, v152 op_sel_hi:[0,0,0] cbsz:4 blgp:4// 000000004B78: D3AC7800 0003319F D3AD8CE4 87922178
	v_mfma_scale_f32_16x16x128_f8f6f4 a[200:203], v[116:119], v[20:23], a[200:203], v159, v153 op_sel_hi:[0,0,0] cbsz:4 blgp:4// 000000004B88: D3AC6000 0003339F D3AD8CC8 87222974
	v_mfma_scale_f32_16x16x128_f8f6f4 a[204:207], v[116:119], v[24:27], a[204:207], v159, v153 op_sel_hi:[0,0,0] cbsz:4 blgp:4// 000000004B98: D3AC7000 0003339F D3AD8CCC 87323174
	s_add_u32 m0, 0x1080, s67                                  // 000000004BA8: 807C43FF 00001080
	buffer_load_dwordx4 v147, s[8:11], 0 offen lds             // 000000004BB0: E05D1000 80020093
	v_mfma_scale_f32_16x16x128_f8f6f4 a[232:235], v[120:123], v[20:23], a[232:235], v159, v153 op_sel_hi:[0,0,0] cbsz:4 blgp:4// 000000004BB8: D3AC2800 0003339F D3AD8CE8 87A22978
	v_mfma_scale_f32_16x16x128_f8f6f4 a[236:239], v[120:123], v[24:27], a[236:239], v159, v153 op_sel_hi:[0,0,0] cbsz:4 blgp:4// 000000004BC8: D3AC7800 0003339F D3AD8CEC 87B23178
	v_mfma_scale_f32_16x16x128_f8f6f4 a[136:139], v[108:111], v[20:23], a[136:139], v158, v153 op_sel_hi:[0,0,0] cbsz:4 blgp:4// 000000004BD8: D3AC4000 0003339E D3AD8C88 8622296C
	v_mfma_scale_f32_16x16x128_f8f6f4 a[140:143], v[108:111], v[24:27], a[140:143], v158, v153 op_sel_hi:[0,0,0] cbsz:4 blgp:4// 000000004BE8: D3AC7000 0003339E D3AD8C8C 8632316C
	v_mfma_scale_f32_16x16x128_f8f6f4 a[168:171], v[112:115], v[20:23], a[168:171], v158, v153 op_sel_hi:[0,0,0] cbsz:4 blgp:4// 000000004BF8: D3AC6800 0003339E D3AD8CA8 86A22970
	v_mfma_scale_f32_16x16x128_f8f6f4 a[172:175], v[112:115], v[24:27], a[172:175], v158, v153 op_sel_hi:[0,0,0] cbsz:4 blgp:4// 000000004C08: D3AC5800 0003339E D3AD8CAC 86B23170
	v_mfma_scale_f32_16x16x128_f8f6f4 a[128:131], v[124:127], v[28:31], a[128:131], v158, v152 op_sel_hi:[0,0,0] cbsz:4 blgp:4// 000000004C18: D3AC6000 1803319E D3AD8C80 8602397C
	v_mfma_scale_f32_16x16x128_f8f6f4 a[132:135], v[124:127], v[32:35], a[132:135], v158, v152 op_sel_hi:[0,0,0] cbsz:4 blgp:4// 000000004C28: D3AC7000 1803319E D3AD8C84 8612417C
	s_add_u32 m0, 0x2100, s67                                  // 000000004C38: 807C43FF 00002100
	buffer_load_dwordx4 v148, s[8:11], 0 offen lds             // 000000004C40: E05D1000 80020094
	v_mfma_scale_f32_16x16x128_f8f6f4 a[160:163], v[128:131], v[28:31], a[160:163], v158, v152 op_sel_hi:[0,0,0] cbsz:4 blgp:4// 000000004C48: D3AC6800 1803319E D3AD8CA0 86823980
	v_mfma_scale_f32_16x16x128_f8f6f4 a[164:167], v[128:131], v[32:35], a[164:167], v158, v152 op_sel_hi:[0,0,0] cbsz:4 blgp:4// 000000004C58: D3AC7800 1803319E D3AD8CA4 86924180
	v_mfma_scale_f32_16x16x128_f8f6f4 a[192:195], v[132:135], v[28:31], a[192:195], v159, v152 op_sel_hi:[0,0,0] cbsz:4 blgp:4// 000000004C68: D3AC6000 1803319F D3AD8CC0 87023984
	v_mfma_scale_f32_16x16x128_f8f6f4 a[196:199], v[132:135], v[32:35], a[196:199], v159, v152 op_sel_hi:[0,0,0] cbsz:4 blgp:4// 000000004C78: D3AC7000 1803319F D3AD8CC4 87124184
	v_mfma_scale_f32_16x16x128_f8f6f4 a[224:227], v[136:139], v[28:31], a[224:227], v159, v152 op_sel_hi:[0,0,0] cbsz:4 blgp:4// 000000004C88: D3AC4800 1803319F D3AD8CE0 87823988
	v_mfma_scale_f32_16x16x128_f8f6f4 a[228:231], v[136:139], v[32:35], a[228:231], v159, v152 op_sel_hi:[0,0,0] cbsz:4 blgp:4// 000000004C98: D3AC7800 1803319F D3AD8CE4 87924188
	v_mfma_scale_f32_16x16x128_f8f6f4 a[200:203], v[132:135], v[36:39], a[200:203], v159, v153 op_sel_hi:[0,0,0] cbsz:4 blgp:4// 000000004CA8: D3AC6000 1803339F D3AD8CC8 87224984
	v_mfma_scale_f32_16x16x128_f8f6f4 a[204:207], v[132:135], v[40:43], a[204:207], v159, v153 op_sel_hi:[0,0,0] cbsz:4 blgp:4// 000000004CB8: D3AC7000 1803339F D3AD8CCC 87325184
	s_add_u32 m0, 0x3180, s67                                  // 000000004CC8: 807C43FF 00003180
	buffer_load_dwordx4 v149, s[8:11], 0 offen lds             // 000000004CD0: E05D1000 80020095
	v_mfma_scale_f32_16x16x128_f8f6f4 a[232:235], v[136:139], v[36:39], a[232:235], v159, v153 op_sel_hi:[0,0,0] cbsz:4 blgp:4// 000000004CD8: D3AC6800 1803339F D3AD8CE8 87A24988
	s_add_u32 s8, s70, s8                                      // 000000004CE8: 80080846
	s_addc_u32 s9, 0, s9                                       // 000000004CEC: 82090980
	v_mfma_scale_f32_16x16x128_f8f6f4 a[236:239], v[136:139], v[40:43], a[236:239], v159, v153 op_sel_hi:[0,0,0] cbsz:4 blgp:4// 000000004CF0: D3AC7800 1803339F D3AD8CEC 87B25188
	v_mfma_scale_f32_16x16x128_f8f6f4 a[136:139], v[124:127], v[36:39], a[136:139], v158, v153 op_sel_hi:[0,0,0] cbsz:4 blgp:4// 000000004D00: D3AC6000 1803339E D3AD8C88 8622497C
	v_mfma_scale_f32_16x16x128_f8f6f4 a[140:143], v[124:127], v[40:43], a[140:143], v158, v153 op_sel_hi:[0,0,0] cbsz:4 blgp:4// 000000004D10: D3AC7000 1803339E D3AD8C8C 8632517C
	v_mfma_scale_f32_16x16x128_f8f6f4 a[168:171], v[128:131], v[36:39], a[168:171], v158, v153 op_sel_hi:[0,0,0] cbsz:4 blgp:4// 000000004D20: D3AC4800 1803339E D3AD8CA8 86A24980
	v_mfma_scale_f32_16x16x128_f8f6f4 a[172:175], v[128:131], v[40:43], a[172:175], v158, v153 op_sel_hi:[0,0,0] cbsz:4 blgp:4// 000000004D30: D3AC7800 1803339E D3AD8CAC 86B25180
	v_mfma_scale_f32_16x16x128_f8f6f4 a[16:19], v[76:79], v[44:47], a[16:19], v156, v154 op_sel_hi:[0,0,0] cbsz:4 blgp:4// 000000004D40: D3AC6000 0003359C D3AD8C10 8442594C
	v_mfma_scale_f32_16x16x128_f8f6f4 a[20:23], v[76:79], v[48:51], a[20:23], v156, v154 op_sel_hi:[0,0,0] cbsz:4 blgp:4// 000000004D50: D3AC7000 0003359C D3AD8C14 8452614C
	s_mov_b32 m0, s60                                          // 000000004D60: BEFC003C
	buffer_load_dwordx4 v140, s[12:15], 0 offen lds            // 000000004D64: E05D1000 8003008C
	v_mfma_scale_f32_16x16x128_f8f6f4 a[48:51], v[80:83], v[44:47], a[48:51], v156, v154 op_sel_hi:[0,0,0] cbsz:4 blgp:4// 000000004D6C: D3AC6800 0003359C D3AD8C30 84C25950
	v_mfma_scale_f32_16x16x128_f8f6f4 a[52:55], v[80:83], v[48:51], a[52:55], v156, v154 op_sel_hi:[0,0,0] cbsz:4 blgp:4// 000000004D7C: D3AC7800 0003359C D3AD8C34 84D26150
	s_add_u32 m0, s75, 0xc00                                   // 000000004D8C: 807CFF4B 00000C00
	buffer_load_dword v161, s[76:79], 0 offen lds              // 000000004D94: E0511000 801300A1
	v_add_u32_e32 v161, 0x100, v161                            // 000000004D9C: 694342FF 00000100
	v_mfma_scale_f32_16x16x128_f8f6f4 a[80:83], v[84:87], v[44:47], a[80:83], v157, v154 op_sel_hi:[0,0,0] cbsz:4 blgp:4// 000000004DA4: D3AC6000 0003359D D3AD8C50 85425954
	v_mfma_scale_f32_16x16x128_f8f6f4 a[84:87], v[84:87], v[48:51], a[84:87], v157, v154 op_sel_hi:[0,0,0] cbsz:4 blgp:4// 000000004DB4: D3AC7000 0003359D D3AD8C54 85526154
	v_mfma_scale_f32_16x16x128_f8f6f4 a[112:115], v[88:91], v[44:47], a[112:115], v157, v154 op_sel_hi:[0,0,0] cbsz:4 blgp:4// 000000004DC4: D3AC4800 0003359D D3AD8C70 85C25958
	v_mfma_scale_f32_16x16x128_f8f6f4 a[116:119], v[88:91], v[48:51], a[116:119], v157, v154 op_sel_hi:[0,0,0] cbsz:4 blgp:4// 000000004DD4: D3AC7800 0003359D D3AD8C74 85D26158
	v_mfma_scale_f32_16x16x128_f8f6f4 a[88:91], v[84:87], v[52:55], a[88:91], v157, v155 op_sel_hi:[0,0,0] cbsz:4 blgp:4// 000000004DE4: D3AC6000 0003379D D3AD8C58 85626954
	v_mfma_scale_f32_16x16x128_f8f6f4 a[92:95], v[84:87], v[56:59], a[92:95], v157, v155 op_sel_hi:[0,0,0] cbsz:4 blgp:4// 000000004DF4: D3AC7000 0003379D D3AD8C5C 85727154
	s_add_u32 m0, 0x1080, s60                                  // 000000004E04: 807C3CFF 00001080
	buffer_load_dwordx4 v141, s[12:15], 0 offen lds            // 000000004E0C: E05D1000 8003008D
	v_mfma_scale_f32_16x16x128_f8f6f4 a[120:123], v[88:91], v[52:55], a[120:123], v157, v155 op_sel_hi:[0,0,0] cbsz:4 blgp:4// 000000004E14: D3AC6800 0003379D D3AD8C78 85E26958
	v_mfma_scale_f32_16x16x128_f8f6f4 a[124:127], v[88:91], v[56:59], a[124:127], v157, v155 op_sel_hi:[0,0,0] cbsz:4 blgp:4// 000000004E24: D3AC7800 0003379D D3AD8C7C 85F27158
	v_mfma_scale_f32_16x16x128_f8f6f4 a[24:27], v[76:79], v[52:55], a[24:27], v156, v155 op_sel_hi:[0,0,0] cbsz:4 blgp:4// 000000004E34: D3AC6000 0003379C D3AD8C18 8462694C
	v_mfma_scale_f32_16x16x128_f8f6f4 a[28:31], v[76:79], v[56:59], a[28:31], v156, v155 op_sel_hi:[0,0,0] cbsz:4 blgp:4// 000000004E44: D3AC7000 0003379C D3AD8C1C 8472714C
	v_mfma_scale_f32_16x16x128_f8f6f4 a[56:59], v[80:83], v[52:55], a[56:59], v156, v155 op_sel_hi:[0,0,0] cbsz:4 blgp:4// 000000004E54: D3AC6800 0003379C D3AD8C38 84E26950
	v_mfma_scale_f32_16x16x128_f8f6f4 a[60:63], v[80:83], v[56:59], a[60:63], v156, v155 op_sel_hi:[0,0,0] cbsz:4 blgp:4// 000000004E64: D3AC7800 0003379C D3AD8C3C 84F27150
	v_mfma_scale_f32_16x16x128_f8f6f4 a[16:19], v[92:95], v[60:63], a[16:19], v156, v154 op_sel_hi:[0,0,0] cbsz:4 blgp:4// 000000004E74: D3AC6000 1803359C D3AD8C10 8442795C
	v_mfma_scale_f32_16x16x128_f8f6f4 a[20:23], v[92:95], v[64:67], a[20:23], v156, v154 op_sel_hi:[0,0,0] cbsz:4 blgp:4// 000000004E84: D3AC7000 1803359C D3AD8C14 8452815C
	s_add_u32 m0, 0x2100, s60                                  // 000000004E94: 807C3CFF 00002100
	buffer_load_dwordx4 v142, s[12:15], 0 offen lds            // 000000004E9C: E05D1000 8003008E
	v_mfma_scale_f32_16x16x128_f8f6f4 a[48:51], v[96:99], v[60:63], a[48:51], v156, v154 op_sel_hi:[0,0,0] cbsz:4 blgp:4// 000000004EA4: D3AC6800 1803359C D3AD8C30 84C27960
	v_mfma_scale_f32_16x16x128_f8f6f4 a[52:55], v[96:99], v[64:67], a[52:55], v156, v154 op_sel_hi:[0,0,0] cbsz:4 blgp:4// 000000004EB4: D3AC7800 1803359C D3AD8C34 84D28160
	v_mfma_scale_f32_16x16x128_f8f6f4 a[80:83], v[100:103], v[60:63], a[80:83], v157, v154 op_sel_hi:[0,0,0] cbsz:4 blgp:4// 000000004EC4: D3AC6000 1803359D D3AD8C50 85427964
	v_mfma_scale_f32_16x16x128_f8f6f4 a[84:87], v[100:103], v[64:67], a[84:87], v157, v154 op_sel_hi:[0,0,0] cbsz:4 blgp:4// 000000004ED4: D3AC7000 1803359D D3AD8C54 85528164
	v_mfma_scale_f32_16x16x128_f8f6f4 a[112:115], v[104:107], v[60:63], a[112:115], v157, v154 op_sel_hi:[0,0,0] cbsz:4 blgp:4// 000000004EE4: D3AC6800 1803359D D3AD8C70 85C27968
	v_mfma_scale_f32_16x16x128_f8f6f4 a[116:119], v[104:107], v[64:67], a[116:119], v157, v154 op_sel_hi:[0,0,0] cbsz:4 blgp:4// 000000004EF4: D3AC7800 1803359D D3AD8C74 85D28168
	v_mfma_scale_f32_16x16x128_f8f6f4 a[88:91], v[100:103], v[68:71], a[88:91], v157, v155 op_sel_hi:[0,0,0] cbsz:4 blgp:4// 000000004F04: D3AC6000 1803379D D3AD8C58 85628964
	v_mfma_scale_f32_16x16x128_f8f6f4 a[92:95], v[100:103], v[72:75], a[92:95], v157, v155 op_sel_hi:[0,0,0] cbsz:4 blgp:4// 000000004F14: D3AC7000 1803379D D3AD8C5C 85729164
	s_add_u32 m0, 0x3180, s60                                  // 000000004F24: 807C3CFF 00003180
	buffer_load_dwordx4 v143, s[12:15], 0 offen lds            // 000000004F2C: E05D1000 8003008F
	v_mfma_scale_f32_16x16x128_f8f6f4 a[120:123], v[104:107], v[68:71], a[120:123], v157, v155 op_sel_hi:[0,0,0] cbsz:4 blgp:4// 000000004F34: D3AC6800 1803379D D3AD8C78 85E28968
	s_add_u32 s31, 0x300, s33                                  // 000000004F44: 801F21FF 00000300
	s_cmp_lt_u32 s31, s34                                      // 000000004F4C: BF0A221F
	s_cselect_b32 s61, s61, 0                                  // 000000004F50: 853D803D
	s_cselect_b32 s21, s21, 0                                  // 000000004F54: 85158015
	v_mfma_scale_f32_16x16x128_f8f6f4 a[124:127], v[104:107], v[72:75], a[124:127], v157, v155 op_sel_hi:[0,0,0] cbsz:4 blgp:4// 000000004F58: D3AC7800 1803379D D3AD8C7C 85F29168
	s_add_u32 s12, s61, s12                                    // 000000004F68: 800C0C3D
	s_addc_u32 s13, 0, s13                                     // 000000004F6C: 820D0D80
	v_mfma_scale_f32_16x16x128_f8f6f4 a[24:27], v[92:95], v[68:71], a[24:27], v156, v155 op_sel_hi:[0,0,0] cbsz:4 blgp:4// 000000004F70: D3AC6000 1803379C D3AD8C18 8462895C
	s_sub_u32 s14, s14, s21                                    // 000000004F80: 808E150E
	v_mfma_scale_f32_16x16x128_f8f6f4 a[28:31], v[92:95], v[72:75], a[28:31], v156, v155 op_sel_hi:[0,0,0] cbsz:4 blgp:4// 000000004F84: D3AC7000 1803379C D3AD8C1C 8472915C
	v_mfma_scale_f32_16x16x128_f8f6f4 a[56:59], v[96:99], v[68:71], a[56:59], v156, v155 op_sel_hi:[0,0,0] cbsz:4 blgp:4// 000000004F94: D3AC6800 1803379C D3AD8C38 84E28960
	v_mfma_scale_f32_16x16x128_f8f6f4 a[60:63], v[96:99], v[72:75], a[60:63], v156, v155 op_sel_hi:[0,0,0] cbsz:4 blgp:4// 000000004FA4: D3AC7800 1803379C D3AD8C3C 84F29160
	s_waitcnt vmcnt(15) lgkmcnt(0)                             // 000000004FB4: BF8C007F
	s_barrier                                                  // 000000004FB8: BF8A0000
	v_mfma_scale_f32_16x16x128_f8f6f4 a[144:147], v[108:111], v[44:47], a[144:147], v158, v154 op_sel_hi:[0,0,0] cbsz:4 blgp:4// 000000004FBC: D3AC6000 0003359E D3AD8C90 8642596C
	ds_read_b128 v[12:15], v144                                // 000000004FCC: D9FE0000 0C000090
	ds_read_b128 v[28:31], v144 offset:64                      // 000000004FD4: D9FE0040 1C000090
	v_mfma_scale_f32_16x16x128_f8f6f4 a[148:151], v[108:111], v[48:51], a[148:151], v158, v154 op_sel_hi:[0,0,0] cbsz:4 blgp:4// 000000004FDC: D3AC7000 0003359E D3AD8C94 8652616C
	s_mov_b32 m0, s68                                          // 000000004FEC: BEFC0044
	buffer_load_dwordx4 v146, s[8:11], 0 offen lds             // 000000004FF0: E05D1000 80020092
	v_mfma_scale_f32_16x16x128_f8f6f4 a[176:179], v[112:115], v[44:47], a[176:179], v158, v154 op_sel_hi:[0,0,0] cbsz:4 blgp:4// 000000004FF8: D3AC6800 0003359E D3AD8CB0 86C25970
	ds_read_b128 v[16:19], v144 offset:512                     // 000000005008: D9FE0200 10000090
	ds_read_b128 v[32:35], v144 offset:576                     // 000000005010: D9FE0240 20000090
	v_mfma_scale_f32_16x16x128_f8f6f4 a[180:183], v[112:115], v[48:51], a[180:183], v158, v154 op_sel_hi:[0,0,0] cbsz:4 blgp:4// 000000005018: D3AC7800 0003359E D3AD8CB4 86D26170
	ds_read_b32 v152, v164                                     // 000000005028: D86C0000 980000A4
	v_mfma_scale_f32_16x16x128_f8f6f4 a[208:211], v[116:119], v[44:47], a[208:211], v159, v154 op_sel_hi:[0,0,0] cbsz:4 blgp:4// 000000005030: D3AC6000 0003359F D3AD8CD0 87425974
	ds_read_b128 v[20:23], v144 offset:4224                    // 000000005040: D9FE1080 14000090
	ds_read_b128 v[36:39], v144 offset:4288                    // 000000005048: D9FE10C0 24000090
	v_mfma_scale_f32_16x16x128_f8f6f4 a[212:215], v[116:119], v[48:51], a[212:215], v159, v154 op_sel_hi:[0,0,0] cbsz:4 blgp:4// 000000005050: D3AC7000 0003359F D3AD8CD4 87526174
	ds_read_b32 v153, v164 offset:256                          // 000000005060: D86C0100 990000A4
	v_mfma_scale_f32_16x16x128_f8f6f4 a[240:243], v[120:123], v[44:47], a[240:243], v159, v154 op_sel_hi:[0,0,0] cbsz:4 blgp:4// 000000005068: D3AC4800 0003359F D3AD8CF0 87C25978
	ds_read_b128 v[24:27], v144 offset:4736                    // 000000005078: D9FE1280 18000090
	ds_read_b128 v[40:43], v144 offset:4800                    // 000000005080: D9FE12C0 28000090
	v_mfma_scale_f32_16x16x128_f8f6f4 a[244:247], v[120:123], v[48:51], a[244:247], v159, v154 op_sel_hi:[0,0,0] cbsz:4 blgp:4// 000000005088: D3AC7800 0003359F D3AD8CF4 87D26178
	ds_read_b32 v156, v165                                     // 000000005098: D86C0000 9C0000A5
	v_mfma_scale_f32_16x16x128_f8f6f4 a[216:219], v[116:119], v[52:55], a[216:219], v159, v155 op_sel_hi:[0,0,0] cbsz:4 blgp:4// 0000000050A0: D3AC6000 0003379F D3AD8CD8 87626974
	ds_read_b128 v[76:79], v150                                // 0000000050B0: D9FE0000 4C000096
	ds_read_b128 v[92:95], v150 offset:64                      // 0000000050B8: D9FE0040 5C000096
	v_mfma_scale_f32_16x16x128_f8f6f4 a[220:223], v[116:119], v[56:59], a[220:223], v159, v155 op_sel_hi:[0,0,0] cbsz:4 blgp:4// 0000000050C0: D3AC7000 0003379F D3AD8CDC 87727174
	s_add_u32 m0, 0x1080, s68                                  // 0000000050D0: 807C44FF 00001080
	buffer_load_dwordx4 v147, s[8:11], 0 offen lds             // 0000000050D8: E05D1000 80020093
	v_mfma_scale_f32_16x16x128_f8f6f4 a[248:251], v[120:123], v[52:55], a[248:251], v159, v155 op_sel_hi:[0,0,0] cbsz:4 blgp:4// 0000000050E0: D3AC6800 0003379F D3AD8CF8 87E26978
	ds_read_b128 v[80:83], v150 offset:512                     // 0000000050F0: D9FE0200 50000096
	ds_read_b128 v[96:99], v150 offset:576                     // 0000000050F8: D9FE0240 60000096
	v_mfma_scale_f32_16x16x128_f8f6f4 a[252:255], v[120:123], v[56:59], a[252:255], v159, v155 op_sel_hi:[0,0,0] cbsz:4 blgp:4// 000000005100: D3AC7800 0003379F D3AD8CFC 87F27178
	ds_read_b32 v157, v165 offset:256                          // 000000005110: D86C0100 9D0000A5
	v_mfma_scale_f32_16x16x128_f8f6f4 a[152:155], v[108:111], v[52:55], a[152:155], v158, v155 op_sel_hi:[0,0,0] cbsz:4 blgp:4// 000000005118: D3AC4000 0003379E D3AD8C98 8662696C
	ds_read_b128 v[84:87], v150 offset:4224                    // 000000005128: D9FE1080 54000096
	ds_read_b128 v[100:103], v150 offset:4288                  // 000000005130: D9FE10C0 64000096
	v_mfma_scale_f32_16x16x128_f8f6f4 a[156:159], v[108:111], v[56:59], a[156:159], v158, v155 op_sel_hi:[0,0,0] cbsz:4 blgp:4// 000000005138: D3AC7000 0003379E D3AD8C9C 8672716C
	s_add_u32 m0, s95, 0xc00                                   // 000000005148: 807CFF5F 00000C00
	buffer_load_dword v163, s[80:83], 0 offen lds              // 000000005150: E0511000 801400A3
	v_add_u32_e32 v163, 0x100, v163                            // 000000005158: 694746FF 00000100
	v_mfma_scale_f32_16x16x128_f8f6f4 a[184:187], v[112:115], v[52:55], a[184:187], v158, v155 op_sel_hi:[0,0,0] cbsz:4 blgp:4// 000000005160: D3AC6800 0003379E D3AD8CB8 86E26970
	ds_read_b128 v[88:91], v150 offset:4736                    // 000000005170: D9FE1280 58000096
	ds_read_b128 v[104:107], v150 offset:4800                  // 000000005178: D9FE12C0 68000096
	v_mfma_scale_f32_16x16x128_f8f6f4 a[188:191], v[112:115], v[56:59], a[188:191], v158, v155 op_sel_hi:[0,0,0] cbsz:4 blgp:4// 000000005180: D3AC7800 0003379E D3AD8CBC 86F27170
	v_mfma_scale_f32_16x16x128_f8f6f4 a[144:147], v[124:127], v[60:63], a[144:147], v158, v154 op_sel_hi:[0,0,0] cbsz:4 blgp:4// 000000005190: D3AC6000 1803359E D3AD8C90 8642797C
	v_mfma_scale_f32_16x16x128_f8f6f4 a[148:151], v[124:127], v[64:67], a[148:151], v158, v154 op_sel_hi:[0,0,0] cbsz:4 blgp:4// 0000000051A0: D3AC7000 1803359E D3AD8C94 8652817C
	s_add_u32 m0, 0x2100, s68                                  // 0000000051B0: 807C44FF 00002100
	buffer_load_dwordx4 v148, s[8:11], 0 offen lds             // 0000000051B8: E05D1000 80020094
	v_mfma_scale_f32_16x16x128_f8f6f4 a[176:179], v[128:131], v[60:63], a[176:179], v158, v154 op_sel_hi:[0,0,0] cbsz:4 blgp:4// 0000000051C0: D3AC6800 1803359E D3AD8CB0 86C27980
	v_mfma_scale_f32_16x16x128_f8f6f4 a[180:183], v[128:131], v[64:67], a[180:183], v158, v154 op_sel_hi:[0,0,0] cbsz:4 blgp:4// 0000000051D0: D3AC7800 1803359E D3AD8CB4 86D28180
	v_mfma_scale_f32_16x16x128_f8f6f4 a[208:211], v[132:135], v[60:63], a[208:211], v159, v154 op_sel_hi:[0,0,0] cbsz:4 blgp:4// 0000000051E0: D3AC6000 1803359F D3AD8CD0 87427984
	v_mfma_scale_f32_16x16x128_f8f6f4 a[212:215], v[132:135], v[64:67], a[212:215], v159, v154 op_sel_hi:[0,0,0] cbsz:4 blgp:4// 0000000051F0: D3AC7000 1803359F D3AD8CD4 87528184
	v_mfma_scale_f32_16x16x128_f8f6f4 a[240:243], v[136:139], v[60:63], a[240:243], v159, v154 op_sel_hi:[0,0,0] cbsz:4 blgp:4// 000000005200: D3AC6800 1803359F D3AD8CF0 87C27988
	v_mfma_scale_f32_16x16x128_f8f6f4 a[244:247], v[136:139], v[64:67], a[244:247], v159, v154 op_sel_hi:[0,0,0] cbsz:4 blgp:4// 000000005210: D3AC7800 1803359F D3AD8CF4 87D28188
	v_mfma_scale_f32_16x16x128_f8f6f4 a[216:219], v[132:135], v[68:71], a[216:219], v159, v155 op_sel_hi:[0,0,0] cbsz:4 blgp:4// 000000005220: D3AC6000 1803379F D3AD8CD8 87628984
	v_mfma_scale_f32_16x16x128_f8f6f4 a[220:223], v[132:135], v[72:75], a[220:223], v159, v155 op_sel_hi:[0,0,0] cbsz:4 blgp:4// 000000005230: D3AC7000 1803379F D3AD8CDC 87729184
	s_add_u32 m0, 0x3180, s68                                  // 000000005240: 807C44FF 00003180
	buffer_load_dwordx4 v149, s[8:11], 0 offen lds             // 000000005248: E05D1000 80020095
	v_mfma_scale_f32_16x16x128_f8f6f4 a[248:251], v[136:139], v[68:71], a[248:251], v159, v155 op_sel_hi:[0,0,0] cbsz:4 blgp:4// 000000005250: D3AC6800 1803379F D3AD8CF8 87E28988
	s_add_u32 s31, 0x300, s33                                  // 000000005260: 801F21FF 00000300
	s_cmp_lt_u32 s31, s34                                      // 000000005268: BF0A221F
	s_cselect_b32 s69, s69, 0                                  // 00000000526C: 85458045
	v_mfma_scale_f32_16x16x128_f8f6f4 a[252:255], v[136:139], v[72:75], a[252:255], v159, v155 op_sel_hi:[0,0,0] cbsz:4 blgp:4// 000000005270: D3AC7800 1803379F D3AD8CFC 87F29188
	s_add_u32 s73, s73, s69                                    // 000000005280: 80494549
	s_addc_u32 s74, 0, s74                                     // 000000005284: 824A4A80
	v_mfma_scale_f32_16x16x128_f8f6f4 a[152:155], v[124:127], v[68:71], a[152:155], v158, v155 op_sel_hi:[0,0,0] cbsz:4 blgp:4// 000000005288: D3AC6000 1803379E D3AD8C98 8662897C
	s_mov_b32 s8, s73                                          // 000000005298: BE880049
	s_mov_b32 s9, s74                                          // 00000000529C: BE89004A
	v_mfma_scale_f32_16x16x128_f8f6f4 a[156:159], v[124:127], v[72:75], a[156:159], v158, v155 op_sel_hi:[0,0,0] cbsz:4 blgp:4// 0000000052A0: D3AC7000 1803379E D3AD8C9C 8672917C
	v_mfma_scale_f32_16x16x128_f8f6f4 a[184:187], v[128:131], v[68:71], a[184:187], v158, v155 op_sel_hi:[0,0,0] cbsz:4 blgp:4// 0000000052B0: D3AC6800 1803379E D3AD8CB8 86E28980
	v_mfma_scale_f32_16x16x128_f8f6f4 a[188:191], v[128:131], v[72:75], a[188:191], v158, v155 op_sel_hi:[0,0,0] cbsz:4 blgp:4// 0000000052C0: D3AC7800 1803379E D3AD8CBC 86F29180
	s_addk_i32 s33, 0x100                                      // 0000000052D0: B7210100
	s_branch label_046D                                        // 0000000052D4: BF82FA77

00000000000052d8 <label_09F6>:
	s_cmp_lt_i32 s33, s34                                      // 0000000052D8: BF042221
	s_cbranch_scc0 label_0F7F                                  // 0000000052DC: BF840587
	s_waitcnt lgkmcnt(0)                                       // 0000000052E0: BF8CC07F
	s_barrier                                                  // 0000000052E4: BF8A0000
	v_mfma_scale_f32_16x16x128_f8f6f4 a[0:3], v[76:79], v[12:15], a[0:3], v156, v152 op_sel_hi:[0,0,0] cbsz:4 blgp:4// 0000000052E8: D3AC6000 0003319C D3AD8C00 8402194C
	s_mov_b32 m0, s57                                          // 0000000052F8: BEFC0039
	buffer_load_dwordx4 v140, s[4:7], 0 offen lds              // 0000000052FC: E05D1000 8001008C
	v_mfma_scale_f32_16x16x128_f8f6f4 a[4:7], v[76:79], v[16:19], a[4:7], v156, v152 op_sel_hi:[0,0,0] cbsz:4 blgp:4// 000000005304: D3AC7000 0003319C D3AD8C04 8412214C
	ds_read_b128 v[44:47], v144 offset:16896                   // 000000005314: D9FE4200 2C000090
	ds_read_b128 v[60:63], v144 offset:16960                   // 00000000531C: D9FE4240 3C000090
	v_mfma_scale_f32_16x16x128_f8f6f4 a[32:35], v[80:83], v[12:15], a[32:35], v156, v152 op_sel_hi:[0,0,0] cbsz:4 blgp:4// 000000005324: D3AC4800 0003319C D3AD8C20 84821950
	ds_read_b32 v154, v164 offset:1024                         // 000000005334: D86C0400 9A0000A4
	v_mfma_scale_f32_16x16x128_f8f6f4 a[36:39], v[80:83], v[16:19], a[36:39], v156, v152 op_sel_hi:[0,0,0] cbsz:4 blgp:4// 00000000533C: D3AC7800 0003319C D3AD8C24 84922150
	ds_read_b128 v[48:51], v144 offset:17408                   // 00000000534C: D9FE4400 30000090
	ds_read_b128 v[64:67], v144 offset:17472                   // 000000005354: D9FE4440 40000090
	v_mfma_scale_f32_16x16x128_f8f6f4 a[64:67], v[84:87], v[12:15], a[64:67], v157, v152 op_sel_hi:[0,0,0] cbsz:4 blgp:4// 00000000535C: D3AC6000 0003319D D3AD8C40 85021954
	ds_read_b32 v155, v164 offset:1280                         // 00000000536C: D86C0500 9B0000A4
	v_mfma_scale_f32_16x16x128_f8f6f4 a[68:71], v[84:87], v[16:19], a[68:71], v157, v152 op_sel_hi:[0,0,0] cbsz:4 blgp:4// 000000005374: D3AC7000 0003319D D3AD8C44 85122154
	ds_read_b128 v[52:55], v144 offset:21120                   // 000000005384: D9FE5280 34000090
	ds_read_b128 v[68:71], v144 offset:21184                   // 00000000538C: D9FE52C0 44000090
	v_mfma_scale_f32_16x16x128_f8f6f4 a[96:99], v[88:91], v[12:15], a[96:99], v157, v152 op_sel_hi:[0,0,0] cbsz:4 blgp:4// 000000005394: D3AC6800 0003319D D3AD8C60 85821958
	ds_read_b32 v158, v165 offset:1024                         // 0000000053A4: D86C0400 9E0000A5
	v_mfma_scale_f32_16x16x128_f8f6f4 a[100:103], v[88:91], v[16:19], a[100:103], v157, v152 op_sel_hi:[0,0,0] cbsz:4 blgp:4// 0000000053AC: D3AC7800 0003319D D3AD8C64 85922158
	ds_read_b128 v[56:59], v144 offset:21632                   // 0000000053BC: D9FE5480 38000090
	ds_read_b128 v[72:75], v144 offset:21696                   // 0000000053C4: D9FE54C0 48000090
	v_add_u32_e32 v144, 0x8400, v144                           // 0000000053CC: 692120FF 00008400
	v_mfma_scale_f32_16x16x128_f8f6f4 a[72:75], v[84:87], v[20:23], a[72:75], v157, v153 op_sel_hi:[0,0,0] cbsz:4 blgp:4// 0000000053D4: D3AC6000 0003339D D3AD8C48 85222954
	s_add_u32 m0, 0x1080, s57                                  // 0000000053E4: 807C39FF 00001080
	buffer_load_dwordx4 v141, s[4:7], 0 offen lds              // 0000000053EC: E05D1000 8001008D
	v_mfma_scale_f32_16x16x128_f8f6f4 a[76:79], v[84:87], v[24:27], a[76:79], v157, v153 op_sel_hi:[0,0,0] cbsz:4 blgp:4// 0000000053F4: D3AC7000 0003339D D3AD8C4C 85323154
	ds_read_b128 v[108:111], v150 offset:16896                 // 000000005404: D9FE4200 6C000096
	ds_read_b128 v[124:127], v150 offset:16960                 // 00000000540C: D9FE4240 7C000096
	v_mfma_scale_f32_16x16x128_f8f6f4 a[104:107], v[88:91], v[20:23], a[104:107], v157, v153 op_sel_hi:[0,0,0] cbsz:4 blgp:4// 000000005414: D3AC6800 0003339D D3AD8C68 85A22958
	ds_read_b32 v159, v165 offset:1280                         // 000000005424: D86C0500 9F0000A5
	v_mfma_scale_f32_16x16x128_f8f6f4 a[108:111], v[88:91], v[24:27], a[108:111], v157, v153 op_sel_hi:[0,0,0] cbsz:4 blgp:4// 00000000542C: D3AC7800 0003339D D3AD8C6C 85B23158
	ds_read_b128 v[112:115], v150 offset:17408                 // 00000000543C: D9FE4400 70000096
	ds_read_b128 v[128:131], v150 offset:17472                 // 000000005444: D9FE4440 80000096
	v_mfma_scale_f32_16x16x128_f8f6f4 a[8:11], v[76:79], v[20:23], a[8:11], v156, v153 op_sel_hi:[0,0,0] cbsz:4 blgp:4// 00000000544C: D3AC6000 0003339C D3AD8C08 8422294C
	s_add_u32 m0, s75, 0                                       // 00000000545C: 807C804B
	buffer_load_dword v160, s[76:79], 0 offen lds              // 000000005460: E0511000 801300A0
	v_add_u32_e32 v160, 0x100, v160                            // 000000005468: 694140FF 00000100
	v_mfma_scale_f32_16x16x128_f8f6f4 a[12:15], v[76:79], v[24:27], a[12:15], v156, v153 op_sel_hi:[0,0,0] cbsz:4 blgp:4// 000000005470: D3AC7000 0003339C D3AD8C0C 8432314C
	ds_read_b128 v[116:119], v150 offset:21120                 // 000000005480: D9FE5280 74000096
	ds_read_b128 v[132:135], v150 offset:21184                 // 000000005488: D9FE52C0 84000096
	v_mfma_scale_f32_16x16x128_f8f6f4 a[40:43], v[80:83], v[20:23], a[40:43], v156, v153 op_sel_hi:[0,0,0] cbsz:4 blgp:4// 000000005490: D3AC6800 0003339C D3AD8C28 84A22950
	v_mfma_scale_f32_16x16x128_f8f6f4 a[44:47], v[80:83], v[24:27], a[44:47], v156, v153 op_sel_hi:[0,0,0] cbsz:4 blgp:4// 0000000054A0: D3AC7800 0003339C D3AD8C2C 84B23150
	ds_read_b128 v[120:123], v150 offset:21632                 // 0000000054B0: D9FE5480 78000096
	ds_read_b128 v[136:139], v150 offset:21696                 // 0000000054B8: D9FE54C0 88000096
	v_add_u32_e32 v150, 0x8400, v150                           // 0000000054C0: 692D2CFF 00008400
	v_mfma_scale_f32_16x16x128_f8f6f4 a[0:3], v[92:95], v[28:31], a[0:3], v156, v152 op_sel_hi:[0,0,0] cbsz:4 blgp:4// 0000000054C8: D3AC6000 1803319C D3AD8C00 8402395C
	s_add_u32 m0, 0x2100, s57                                  // 0000000054D8: 807C39FF 00002100
	buffer_load_dwordx4 v142, s[4:7], 0 offen lds              // 0000000054E0: E05D1000 8001008E
	v_mfma_scale_f32_16x16x128_f8f6f4 a[4:7], v[92:95], v[32:35], a[4:7], v156, v152 op_sel_hi:[0,0,0] cbsz:4 blgp:4// 0000000054E8: D3AC7000 1803319C D3AD8C04 8412415C
	v_mfma_scale_f32_16x16x128_f8f6f4 a[32:35], v[96:99], v[28:31], a[32:35], v156, v152 op_sel_hi:[0,0,0] cbsz:4 blgp:4// 0000000054F8: D3AC6800 1803319C D3AD8C20 84823960
	v_mfma_scale_f32_16x16x128_f8f6f4 a[36:39], v[96:99], v[32:35], a[36:39], v156, v152 op_sel_hi:[0,0,0] cbsz:4 blgp:4// 000000005508: D3AC7800 1803319C D3AD8C24 84924160
	v_mfma_scale_f32_16x16x128_f8f6f4 a[64:67], v[100:103], v[28:31], a[64:67], v157, v152 op_sel_hi:[0,0,0] cbsz:4 blgp:4// 000000005518: D3AC6000 1803319D D3AD8C40 85023964
	v_mfma_scale_f32_16x16x128_f8f6f4 a[68:71], v[100:103], v[32:35], a[68:71], v157, v152 op_sel_hi:[0,0,0] cbsz:4 blgp:4// 000000005528: D3AC7000 1803319D D3AD8C44 85124164
	v_mfma_scale_f32_16x16x128_f8f6f4 a[96:99], v[104:107], v[28:31], a[96:99], v157, v152 op_sel_hi:[0,0,0] cbsz:4 blgp:4// 000000005538: D3AC6800 1803319D D3AD8C60 85823968
	v_mfma_scale_f32_16x16x128_f8f6f4 a[100:103], v[104:107], v[32:35], a[100:103], v157, v152 op_sel_hi:[0,0,0] cbsz:4 blgp:4// 000000005548: D3AC7800 1803319D D3AD8C64 85924168
	v_mfma_scale_f32_16x16x128_f8f6f4 a[72:75], v[100:103], v[36:39], a[72:75], v157, v153 op_sel_hi:[0,0,0] cbsz:4 blgp:4// 000000005558: D3AC6000 1803339D D3AD8C48 85224964
	s_add_u32 m0, 0x3180, s57                                  // 000000005568: 807C39FF 00003180
	buffer_load_dwordx4 v143, s[4:7], 0 offen lds              // 000000005570: E05D1000 8001008F
	v_mfma_scale_f32_16x16x128_f8f6f4 a[76:79], v[100:103], v[40:43], a[76:79], v157, v153 op_sel_hi:[0,0,0] cbsz:4 blgp:4// 000000005578: D3AC7000 1803339D D3AD8C4C 85325164
	s_add_u32 s4, s61, s4                                      // 000000005588: 8004043D
	s_addc_u32 s5, 0, s5                                       // 00000000558C: 82050580
	s_sub_u32 s6, s6, s61                                      // 000000005590: 80863D06
	v_mfma_scale_f32_16x16x128_f8f6f4 a[104:107], v[104:107], v[36:39], a[104:107], v157, v153 op_sel_hi:[0,0,0] cbsz:4 blgp:4// 000000005594: D3AC6800 1803339D D3AD8C68 85A24968
	v_mfma_scale_f32_16x16x128_f8f6f4 a[108:111], v[104:107], v[40:43], a[108:111], v157, v153 op_sel_hi:[0,0,0] cbsz:4 blgp:4// 0000000055A4: D3AC7800 1803339D D3AD8C6C 85B25168
	v_mfma_scale_f32_16x16x128_f8f6f4 a[8:11], v[92:95], v[36:39], a[8:11], v156, v153 op_sel_hi:[0,0,0] cbsz:4 blgp:4// 0000000055B4: D3AC6000 1803339C D3AD8C08 8422495C
	v_mfma_scale_f32_16x16x128_f8f6f4 a[12:15], v[92:95], v[40:43], a[12:15], v156, v153 op_sel_hi:[0,0,0] cbsz:4 blgp:4// 0000000055C4: D3AC7000 1803339C D3AD8C0C 8432515C
	v_mfma_scale_f32_16x16x128_f8f6f4 a[40:43], v[96:99], v[36:39], a[40:43], v156, v153 op_sel_hi:[0,0,0] cbsz:4 blgp:4// 0000000055D4: D3AC6800 1803339C D3AD8C28 84A24960
	v_mfma_scale_f32_16x16x128_f8f6f4 a[44:47], v[96:99], v[40:43], a[44:47], v156, v153 op_sel_hi:[0,0,0] cbsz:4 blgp:4// 0000000055E4: D3AC7800 1803339C D3AD8C2C 84B25160
	s_waitcnt lgkmcnt(0)                                       // 0000000055F4: BF8CC07F
	s_barrier                                                  // 0000000055F8: BF8A0000
	v_mfma_scale_f32_16x16x128_f8f6f4 a[128:131], v[108:111], v[12:15], a[128:131], v158, v152 op_sel_hi:[0,0,0] cbsz:4 blgp:4// 0000000055FC: D3AC6000 0003319E D3AD8C80 8602196C
	s_mov_b32 m0, s65                                          // 00000000560C: BEFC0041
	buffer_load_dwordx4 v146, s[8:11], 0 offen lds             // 000000005610: E05D1000 80020092
	v_mfma_scale_f32_16x16x128_f8f6f4 a[132:135], v[108:111], v[16:19], a[132:135], v158, v152 op_sel_hi:[0,0,0] cbsz:4 blgp:4// 000000005618: D3AC7000 0003319E D3AD8C84 8612216C
	v_mfma_scale_f32_16x16x128_f8f6f4 a[160:163], v[112:115], v[12:15], a[160:163], v158, v152 op_sel_hi:[0,0,0] cbsz:4 blgp:4// 000000005628: D3AC6800 0003319E D3AD8CA0 86821970
	s_add_u32 m0, s95, 0                                       // 000000005638: 807C805F
	buffer_load_dword v162, s[80:83], 0 offen lds              // 00000000563C: E0511000 801400A2
	v_add_u32_e32 v162, 0x100, v162                            // 000000005644: 694544FF 00000100
	v_mfma_scale_f32_16x16x128_f8f6f4 a[164:167], v[112:115], v[16:19], a[164:167], v158, v152 op_sel_hi:[0,0,0] cbsz:4 blgp:4// 00000000564C: D3AC7800 0003319E D3AD8CA4 86922170
	v_mfma_scale_f32_16x16x128_f8f6f4 a[192:195], v[116:119], v[12:15], a[192:195], v159, v152 op_sel_hi:[0,0,0] cbsz:4 blgp:4// 00000000565C: D3AC6000 0003319F D3AD8CC0 87021974
	v_mfma_scale_f32_16x16x128_f8f6f4 a[196:199], v[116:119], v[16:19], a[196:199], v159, v152 op_sel_hi:[0,0,0] cbsz:4 blgp:4// 00000000566C: D3AC7000 0003319F D3AD8CC4 87122174
	v_mfma_scale_f32_16x16x128_f8f6f4 a[224:227], v[120:123], v[12:15], a[224:227], v159, v152 op_sel_hi:[0,0,0] cbsz:4 blgp:4// 00000000567C: D3AC6800 0003319F D3AD8CE0 87821978
	v_mfma_scale_f32_16x16x128_f8f6f4 a[228:231], v[120:123], v[16:19], a[228:231], v159, v152 op_sel_hi:[0,0,0] cbsz:4 blgp:4// 00000000568C: D3AC7800 0003319F D3AD8CE4 87922178
	v_mfma_scale_f32_16x16x128_f8f6f4 a[200:203], v[116:119], v[20:23], a[200:203], v159, v153 op_sel_hi:[0,0,0] cbsz:4 blgp:4// 00000000569C: D3AC6000 0003339F D3AD8CC8 87222974
	s_add_u32 m0, 0x1080, s65                                  // 0000000056AC: 807C41FF 00001080
	buffer_load_dwordx4 v147, s[8:11], 0 offen lds             // 0000000056B4: E05D1000 80020093
	v_mfma_scale_f32_16x16x128_f8f6f4 a[204:207], v[116:119], v[24:27], a[204:207], v159, v153 op_sel_hi:[0,0,0] cbsz:4 blgp:4// 0000000056BC: D3AC7000 0003339F D3AD8CCC 87323174
	v_mfma_scale_f32_16x16x128_f8f6f4 a[232:235], v[120:123], v[20:23], a[232:235], v159, v153 op_sel_hi:[0,0,0] cbsz:4 blgp:4// 0000000056CC: D3AC6800 0003339F D3AD8CE8 87A22978
	v_mfma_scale_f32_16x16x128_f8f6f4 a[236:239], v[120:123], v[24:27], a[236:239], v159, v153 op_sel_hi:[0,0,0] cbsz:4 blgp:4// 0000000056DC: D3AC7800 0003339F D3AD8CEC 87B23178
	v_mfma_scale_f32_16x16x128_f8f6f4 a[136:139], v[108:111], v[20:23], a[136:139], v158, v153 op_sel_hi:[0,0,0] cbsz:4 blgp:4// 0000000056EC: D3AC6000 0003339E D3AD8C88 8622296C
	v_mfma_scale_f32_16x16x128_f8f6f4 a[140:143], v[108:111], v[24:27], a[140:143], v158, v153 op_sel_hi:[0,0,0] cbsz:4 blgp:4// 0000000056FC: D3AC7000 0003339E D3AD8C8C 8632316C
	v_mfma_scale_f32_16x16x128_f8f6f4 a[168:171], v[112:115], v[20:23], a[168:171], v158, v153 op_sel_hi:[0,0,0] cbsz:4 blgp:4// 00000000570C: D3AC6800 0003339E D3AD8CA8 86A22970
	v_mfma_scale_f32_16x16x128_f8f6f4 a[172:175], v[112:115], v[24:27], a[172:175], v158, v153 op_sel_hi:[0,0,0] cbsz:4 blgp:4// 00000000571C: D3AC7800 0003339E D3AD8CAC 86B23170
	v_mfma_scale_f32_16x16x128_f8f6f4 a[128:131], v[124:127], v[28:31], a[128:131], v158, v152 op_sel_hi:[0,0,0] cbsz:4 blgp:4// 00000000572C: D3AC6000 1803319E D3AD8C80 8602397C
	s_add_u32 m0, 0x2100, s65                                  // 00000000573C: 807C41FF 00002100
	buffer_load_dwordx4 v148, s[8:11], 0 offen lds             // 000000005744: E05D1000 80020094
	v_mfma_scale_f32_16x16x128_f8f6f4 a[132:135], v[124:127], v[32:35], a[132:135], v158, v152 op_sel_hi:[0,0,0] cbsz:4 blgp:4// 00000000574C: D3AC7000 1803319E D3AD8C84 8612417C
	v_mfma_scale_f32_16x16x128_f8f6f4 a[160:163], v[128:131], v[28:31], a[160:163], v158, v152 op_sel_hi:[0,0,0] cbsz:4 blgp:4// 00000000575C: D3AC6800 1803319E D3AD8CA0 86823980
	v_mfma_scale_f32_16x16x128_f8f6f4 a[164:167], v[128:131], v[32:35], a[164:167], v158, v152 op_sel_hi:[0,0,0] cbsz:4 blgp:4// 00000000576C: D3AC7800 1803319E D3AD8CA4 86924180
	v_mfma_scale_f32_16x16x128_f8f6f4 a[192:195], v[132:135], v[28:31], a[192:195], v159, v152 op_sel_hi:[0,0,0] cbsz:4 blgp:4// 00000000577C: D3AC6000 1803319F D3AD8CC0 87023984
	v_mfma_scale_f32_16x16x128_f8f6f4 a[196:199], v[132:135], v[32:35], a[196:199], v159, v152 op_sel_hi:[0,0,0] cbsz:4 blgp:4// 00000000578C: D3AC7000 1803319F D3AD8CC4 87124184
	v_mfma_scale_f32_16x16x128_f8f6f4 a[224:227], v[136:139], v[28:31], a[224:227], v159, v152 op_sel_hi:[0,0,0] cbsz:4 blgp:4// 00000000579C: D3AC6800 1803319F D3AD8CE0 87823988
	v_mfma_scale_f32_16x16x128_f8f6f4 a[228:231], v[136:139], v[32:35], a[228:231], v159, v152 op_sel_hi:[0,0,0] cbsz:4 blgp:4// 0000000057AC: D3AC7800 1803319F D3AD8CE4 87924188
	v_mfma_scale_f32_16x16x128_f8f6f4 a[200:203], v[132:135], v[36:39], a[200:203], v159, v153 op_sel_hi:[0,0,0] cbsz:4 blgp:4// 0000000057BC: D3AC6000 1803339F D3AD8CC8 87224984
	s_add_u32 m0, 0x3180, s65                                  // 0000000057CC: 807C41FF 00003180
	buffer_load_dwordx4 v149, s[8:11], 0 offen lds             // 0000000057D4: E05D1000 80020095
	v_mfma_scale_f32_16x16x128_f8f6f4 a[204:207], v[132:135], v[40:43], a[204:207], v159, v153 op_sel_hi:[0,0,0] cbsz:4 blgp:4// 0000000057DC: D3AC7000 1803339F D3AD8CCC 87325184
	s_add_u32 s8, s70, s8                                      // 0000000057EC: 80080846
	s_addc_u32 s9, 0, s9                                       // 0000000057F0: 82090980
	v_mfma_scale_f32_16x16x128_f8f6f4 a[232:235], v[136:139], v[36:39], a[232:235], v159, v153 op_sel_hi:[0,0,0] cbsz:4 blgp:4// 0000000057F4: D3AC6800 1803339F D3AD8CE8 87A24988
	v_mfma_scale_f32_16x16x128_f8f6f4 a[236:239], v[136:139], v[40:43], a[236:239], v159, v153 op_sel_hi:[0,0,0] cbsz:4 blgp:4// 000000005804: D3AC7800 1803339F D3AD8CEC 87B25188
	v_mfma_scale_f32_16x16x128_f8f6f4 a[136:139], v[124:127], v[36:39], a[136:139], v158, v153 op_sel_hi:[0,0,0] cbsz:4 blgp:4// 000000005814: D3AC6000 1803339E D3AD8C88 8622497C
	v_mfma_scale_f32_16x16x128_f8f6f4 a[140:143], v[124:127], v[40:43], a[140:143], v158, v153 op_sel_hi:[0,0,0] cbsz:4 blgp:4// 000000005824: D3AC7000 1803339E D3AD8C8C 8632517C
	v_mfma_scale_f32_16x16x128_f8f6f4 a[168:171], v[128:131], v[36:39], a[168:171], v158, v153 op_sel_hi:[0,0,0] cbsz:4 blgp:4// 000000005834: D3AC6800 1803339E D3AD8CA8 86A24980
	v_mfma_scale_f32_16x16x128_f8f6f4 a[172:175], v[128:131], v[40:43], a[172:175], v158, v153 op_sel_hi:[0,0,0] cbsz:4 blgp:4// 000000005844: D3AC7800 1803339E D3AD8CAC 86B25180
	v_mfma_scale_f32_16x16x128_f8f6f4 a[16:19], v[76:79], v[44:47], a[16:19], v156, v154 op_sel_hi:[0,0,0] cbsz:4 blgp:4// 000000005854: D3AC6000 0003359C D3AD8C10 8442594C
	s_mov_b32 m0, s58                                          // 000000005864: BEFC003A
	buffer_load_dwordx4 v140, s[12:15], 0 offen lds            // 000000005868: E05D1000 8003008C
	v_mfma_scale_f32_16x16x128_f8f6f4 a[20:23], v[76:79], v[48:51], a[20:23], v156, v154 op_sel_hi:[0,0,0] cbsz:4 blgp:4// 000000005870: D3AC7000 0003359C D3AD8C14 8452614C
	v_mfma_scale_f32_16x16x128_f8f6f4 a[48:51], v[80:83], v[44:47], a[48:51], v156, v154 op_sel_hi:[0,0,0] cbsz:4 blgp:4// 000000005880: D3AC6800 0003359C D3AD8C30 84C25950
	s_add_u32 m0, s75, 0x400                                   // 000000005890: 807CFF4B 00000400
	buffer_load_dword v161, s[76:79], 0 offen lds              // 000000005898: E0511000 801300A1
	v_add_u32_e32 v161, 0x100, v161                            // 0000000058A0: 694342FF 00000100
	v_mfma_scale_f32_16x16x128_f8f6f4 a[52:55], v[80:83], v[48:51], a[52:55], v156, v154 op_sel_hi:[0,0,0] cbsz:4 blgp:4// 0000000058A8: D3AC7800 0003359C D3AD8C34 84D26150
	v_mfma_scale_f32_16x16x128_f8f6f4 a[80:83], v[84:87], v[44:47], a[80:83], v157, v154 op_sel_hi:[0,0,0] cbsz:4 blgp:4// 0000000058B8: D3AC6000 0003359D D3AD8C50 85425954
	v_mfma_scale_f32_16x16x128_f8f6f4 a[84:87], v[84:87], v[48:51], a[84:87], v157, v154 op_sel_hi:[0,0,0] cbsz:4 blgp:4// 0000000058C8: D3AC7000 0003359D D3AD8C54 85526154
	v_mfma_scale_f32_16x16x128_f8f6f4 a[112:115], v[88:91], v[44:47], a[112:115], v157, v154 op_sel_hi:[0,0,0] cbsz:4 blgp:4// 0000000058D8: D3AC6800 0003359D D3AD8C70 85C25958
	v_mfma_scale_f32_16x16x128_f8f6f4 a[116:119], v[88:91], v[48:51], a[116:119], v157, v154 op_sel_hi:[0,0,0] cbsz:4 blgp:4// 0000000058E8: D3AC7800 0003359D D3AD8C74 85D26158
	v_mfma_scale_f32_16x16x128_f8f6f4 a[88:91], v[84:87], v[52:55], a[88:91], v157, v155 op_sel_hi:[0,0,0] cbsz:4 blgp:4// 0000000058F8: D3AC6000 0003379D D3AD8C58 85626954
	s_add_u32 m0, 0x1080, s58                                  // 000000005908: 807C3AFF 00001080
	buffer_load_dwordx4 v141, s[12:15], 0 offen lds            // 000000005910: E05D1000 8003008D
	v_mfma_scale_f32_16x16x128_f8f6f4 a[92:95], v[84:87], v[56:59], a[92:95], v157, v155 op_sel_hi:[0,0,0] cbsz:4 blgp:4// 000000005918: D3AC7000 0003379D D3AD8C5C 85727154
	v_mfma_scale_f32_16x16x128_f8f6f4 a[120:123], v[88:91], v[52:55], a[120:123], v157, v155 op_sel_hi:[0,0,0] cbsz:4 blgp:4// 000000005928: D3AC4800 0003379D D3AD8C78 85E26958
	v_mfma_scale_f32_16x16x128_f8f6f4 a[124:127], v[88:91], v[56:59], a[124:127], v157, v155 op_sel_hi:[0,0,0] cbsz:4 blgp:4// 000000005938: D3AC5800 0003379D D3AD8C7C 85F27158
	v_mfma_scale_f32_16x16x128_f8f6f4 a[24:27], v[76:79], v[52:55], a[24:27], v156, v155 op_sel_hi:[0,0,0] cbsz:4 blgp:4// 000000005948: D3AC6000 0003379C D3AD8C18 8462694C
	v_mfma_scale_f32_16x16x128_f8f6f4 a[28:31], v[76:79], v[56:59], a[28:31], v156, v155 op_sel_hi:[0,0,0] cbsz:4 blgp:4// 000000005958: D3AC7000 0003379C D3AD8C1C 8472714C
	v_mfma_scale_f32_16x16x128_f8f6f4 a[56:59], v[80:83], v[52:55], a[56:59], v156, v155 op_sel_hi:[0,0,0] cbsz:4 blgp:4// 000000005968: D3AC6800 0003379C D3AD8C38 84E26950
	v_mfma_scale_f32_16x16x128_f8f6f4 a[60:63], v[80:83], v[56:59], a[60:63], v156, v155 op_sel_hi:[0,0,0] cbsz:4 blgp:4// 000000005978: D3AC7800 0003379C D3AD8C3C 84F27150
	v_mfma_scale_f32_16x16x128_f8f6f4 a[16:19], v[92:95], v[60:63], a[16:19], v156, v154 op_sel_hi:[0,0,0] cbsz:4 blgp:4// 000000005988: D3AC6000 1803359C D3AD8C10 8442795C
	s_add_u32 m0, 0x2100, s58                                  // 000000005998: 807C3AFF 00002100
	buffer_load_dwordx4 v142, s[12:15], 0 offen lds            // 0000000059A0: E05D1000 8003008E
	v_mfma_scale_f32_16x16x128_f8f6f4 a[20:23], v[92:95], v[64:67], a[20:23], v156, v154 op_sel_hi:[0,0,0] cbsz:4 blgp:4// 0000000059A8: D3AC7000 1803359C D3AD8C14 8452815C
	v_mfma_scale_f32_16x16x128_f8f6f4 a[48:51], v[96:99], v[60:63], a[48:51], v156, v154 op_sel_hi:[0,0,0] cbsz:4 blgp:4// 0000000059B8: D3AC6800 1803359C D3AD8C30 84C27960
	v_mfma_scale_f32_16x16x128_f8f6f4 a[52:55], v[96:99], v[64:67], a[52:55], v156, v154 op_sel_hi:[0,0,0] cbsz:4 blgp:4// 0000000059C8: D3AC7800 1803359C D3AD8C34 84D28160
	v_mfma_scale_f32_16x16x128_f8f6f4 a[80:83], v[100:103], v[60:63], a[80:83], v157, v154 op_sel_hi:[0,0,0] cbsz:4 blgp:4// 0000000059D8: D3AC6000 1803359D D3AD8C50 85427964
	v_mfma_scale_f32_16x16x128_f8f6f4 a[84:87], v[100:103], v[64:67], a[84:87], v157, v154 op_sel_hi:[0,0,0] cbsz:4 blgp:4// 0000000059E8: D3AC7000 1803359D D3AD8C54 85528164
	v_mfma_scale_f32_16x16x128_f8f6f4 a[112:115], v[104:107], v[60:63], a[112:115], v157, v154 op_sel_hi:[0,0,0] cbsz:4 blgp:4// 0000000059F8: D3AC6800 1803359D D3AD8C70 85C27968
	v_mfma_scale_f32_16x16x128_f8f6f4 a[116:119], v[104:107], v[64:67], a[116:119], v157, v154 op_sel_hi:[0,0,0] cbsz:4 blgp:4// 000000005A08: D3AC7800 1803359D D3AD8C74 85D28168
	v_mfma_scale_f32_16x16x128_f8f6f4 a[88:91], v[100:103], v[68:71], a[88:91], v157, v155 op_sel_hi:[0,0,0] cbsz:4 blgp:4// 000000005A18: D3AC6000 1803379D D3AD8C58 85628964
	s_add_u32 m0, 0x3180, s58                                  // 000000005A28: 807C3AFF 00003180
	buffer_load_dwordx4 v143, s[12:15], 0 offen lds            // 000000005A30: E05D1000 8003008F
	v_mfma_scale_f32_16x16x128_f8f6f4 a[92:95], v[100:103], v[72:75], a[92:95], v157, v155 op_sel_hi:[0,0,0] cbsz:4 blgp:4// 000000005A38: D3AC7000 1803379D D3AD8C5C 85729164
	s_add_u32 s31, 0x300, s33                                  // 000000005A48: 801F21FF 00000300
	s_cmp_lt_u32 s31, s34                                      // 000000005A50: BF0A221F
	s_cselect_b32 s61, s61, 0                                  // 000000005A54: 853D803D
	s_cselect_b32 s21, s21, 0                                  // 000000005A58: 85158015
	v_mfma_scale_f32_16x16x128_f8f6f4 a[120:123], v[104:107], v[68:71], a[120:123], v157, v155 op_sel_hi:[0,0,0] cbsz:4 blgp:4// 000000005A5C: D3AC6800 1803379D D3AD8C78 85E28968
	s_add_u32 s12, s61, s12                                    // 000000005A6C: 800C0C3D
	s_addc_u32 s13, 0, s13                                     // 000000005A70: 820D0D80
	v_mfma_scale_f32_16x16x128_f8f6f4 a[124:127], v[104:107], v[72:75], a[124:127], v157, v155 op_sel_hi:[0,0,0] cbsz:4 blgp:4// 000000005A74: D3AC7800 1803379D D3AD8C7C 85F29168
	s_sub_u32 s14, s14, s21                                    // 000000005A84: 808E150E
	v_mfma_scale_f32_16x16x128_f8f6f4 a[24:27], v[92:95], v[68:71], a[24:27], v156, v155 op_sel_hi:[0,0,0] cbsz:4 blgp:4// 000000005A88: D3AC6000 1803379C D3AD8C18 8462895C
	v_mfma_scale_f32_16x16x128_f8f6f4 a[28:31], v[92:95], v[72:75], a[28:31], v156, v155 op_sel_hi:[0,0,0] cbsz:4 blgp:4// 000000005A98: D3AC7000 1803379C D3AD8C1C 8472915C
	v_mfma_scale_f32_16x16x128_f8f6f4 a[56:59], v[96:99], v[68:71], a[56:59], v156, v155 op_sel_hi:[0,0,0] cbsz:4 blgp:4// 000000005AA8: D3AC6800 1803379C D3AD8C38 84E28960
	v_mfma_scale_f32_16x16x128_f8f6f4 a[60:63], v[96:99], v[72:75], a[60:63], v156, v155 op_sel_hi:[0,0,0] cbsz:4 blgp:4// 000000005AB8: D3AC7800 1803379C D3AD8C3C 84F29160
	s_waitcnt vmcnt(15) lgkmcnt(0)                             // 000000005AC8: BF8C007F
	s_barrier                                                  // 000000005ACC: BF8A0000
	v_mfma_scale_f32_16x16x128_f8f6f4 a[144:147], v[108:111], v[44:47], a[144:147], v158, v154 op_sel_hi:[0,0,0] cbsz:4 blgp:4// 000000005AD0: D3AC6000 0003359E D3AD8C90 8642596C
	s_mov_b32 m0, s66                                          // 000000005AE0: BEFC0042
	buffer_load_dwordx4 v146, s[8:11], 0 offen lds             // 000000005AE4: E05D1000 80020092
	v_mfma_scale_f32_16x16x128_f8f6f4 a[148:151], v[108:111], v[48:51], a[148:151], v158, v154 op_sel_hi:[0,0,0] cbsz:4 blgp:4// 000000005AEC: D3AC7000 0003359E D3AD8C94 8652616C
	ds_read_b128 v[12:15], v144                                // 000000005AFC: D9FE0000 0C000090
	ds_read_b128 v[28:31], v144 offset:64                      // 000000005B04: D9FE0040 1C000090
	v_mfma_scale_f32_16x16x128_f8f6f4 a[176:179], v[112:115], v[44:47], a[176:179], v158, v154 op_sel_hi:[0,0,0] cbsz:4 blgp:4// 000000005B0C: D3AC6800 0003359E D3AD8CB0 86C25970
	ds_read_b32 v152, v164 offset:2048                         // 000000005B1C: D86C0800 980000A4
	v_mfma_scale_f32_16x16x128_f8f6f4 a[180:183], v[112:115], v[48:51], a[180:183], v158, v154 op_sel_hi:[0,0,0] cbsz:4 blgp:4// 000000005B24: D3AC7800 0003359E D3AD8CB4 86D26170
	ds_read_b128 v[16:19], v144 offset:512                     // 000000005B34: D9FE0200 10000090
	ds_read_b128 v[32:35], v144 offset:576                     // 000000005B3C: D9FE0240 20000090
	v_mfma_scale_f32_16x16x128_f8f6f4 a[208:211], v[116:119], v[44:47], a[208:211], v159, v154 op_sel_hi:[0,0,0] cbsz:4 blgp:4// 000000005B44: D3AC6000 0003359F D3AD8CD0 87425974
	ds_read_b32 v153, v164 offset:2304                         // 000000005B54: D86C0900 990000A4
	v_mfma_scale_f32_16x16x128_f8f6f4 a[212:215], v[116:119], v[48:51], a[212:215], v159, v154 op_sel_hi:[0,0,0] cbsz:4 blgp:4// 000000005B5C: D3AC7000 0003359F D3AD8CD4 87526174
	ds_read_b128 v[20:23], v144 offset:4224                    // 000000005B6C: D9FE1080 14000090
	ds_read_b128 v[36:39], v144 offset:4288                    // 000000005B74: D9FE10C0 24000090
	v_mfma_scale_f32_16x16x128_f8f6f4 a[240:243], v[120:123], v[44:47], a[240:243], v159, v154 op_sel_hi:[0,0,0] cbsz:4 blgp:4// 000000005B7C: D3AC6800 0003359F D3AD8CF0 87C25978
	ds_read_b32 v156, v165 offset:2048                         // 000000005B8C: D86C0800 9C0000A5
	v_mfma_scale_f32_16x16x128_f8f6f4 a[244:247], v[120:123], v[48:51], a[244:247], v159, v154 op_sel_hi:[0,0,0] cbsz:4 blgp:4// 000000005B94: D3AC7800 0003359F D3AD8CF4 87D26178
	ds_read_b128 v[24:27], v144 offset:4736                    // 000000005BA4: D9FE1280 18000090
	ds_read_b128 v[40:43], v144 offset:4800                    // 000000005BAC: D9FE12C0 28000090
	v_mfma_scale_f32_16x16x128_f8f6f4 a[216:219], v[116:119], v[52:55], a[216:219], v159, v155 op_sel_hi:[0,0,0] cbsz:4 blgp:4// 000000005BB4: D3AC6000 0003379F D3AD8CD8 87626974
	s_add_u32 m0, 0x1080, s66                                  // 000000005BC4: 807C42FF 00001080
	buffer_load_dwordx4 v147, s[8:11], 0 offen lds             // 000000005BCC: E05D1000 80020093
	v_mfma_scale_f32_16x16x128_f8f6f4 a[220:223], v[116:119], v[56:59], a[220:223], v159, v155 op_sel_hi:[0,0,0] cbsz:4 blgp:4// 000000005BD4: D3AC7000 0003379F D3AD8CDC 87727174
	ds_read_b128 v[76:79], v150                                // 000000005BE4: D9FE0000 4C000096
	ds_read_b128 v[92:95], v150 offset:64                      // 000000005BEC: D9FE0040 5C000096
	v_mfma_scale_f32_16x16x128_f8f6f4 a[248:251], v[120:123], v[52:55], a[248:251], v159, v155 op_sel_hi:[0,0,0] cbsz:4 blgp:4// 000000005BF4: D3AC6800 0003379F D3AD8CF8 87E26978
	ds_read_b32 v157, v165 offset:2304                         // 000000005C04: D86C0900 9D0000A5
	v_mfma_scale_f32_16x16x128_f8f6f4 a[252:255], v[120:123], v[56:59], a[252:255], v159, v155 op_sel_hi:[0,0,0] cbsz:4 blgp:4// 000000005C0C: D3AC7800 0003379F D3AD8CFC 87F27178
	ds_read_b128 v[80:83], v150 offset:512                     // 000000005C1C: D9FE0200 50000096
	ds_read_b128 v[96:99], v150 offset:576                     // 000000005C24: D9FE0240 60000096
	v_mfma_scale_f32_16x16x128_f8f6f4 a[152:155], v[108:111], v[52:55], a[152:155], v158, v155 op_sel_hi:[0,0,0] cbsz:4 blgp:4// 000000005C2C: D3AC6000 0003379E D3AD8C98 8662696C
	s_add_u32 m0, s95, 0x400                                   // 000000005C3C: 807CFF5F 00000400
	buffer_load_dword v163, s[80:83], 0 offen lds              // 000000005C44: E0511000 801400A3
	v_add_u32_e32 v163, 0x100, v163                            // 000000005C4C: 694746FF 00000100
	v_mfma_scale_f32_16x16x128_f8f6f4 a[156:159], v[108:111], v[56:59], a[156:159], v158, v155 op_sel_hi:[0,0,0] cbsz:4 blgp:4// 000000005C54: D3AC7000 0003379E D3AD8C9C 8672716C
	ds_read_b128 v[84:87], v150 offset:4224                    // 000000005C64: D9FE1080 54000096
	ds_read_b128 v[100:103], v150 offset:4288                  // 000000005C6C: D9FE10C0 64000096
	v_mfma_scale_f32_16x16x128_f8f6f4 a[184:187], v[112:115], v[52:55], a[184:187], v158, v155 op_sel_hi:[0,0,0] cbsz:4 blgp:4// 000000005C74: D3AC4800 0003379E D3AD8CB8 86E26970
	v_mfma_scale_f32_16x16x128_f8f6f4 a[188:191], v[112:115], v[56:59], a[188:191], v158, v155 op_sel_hi:[0,0,0] cbsz:4 blgp:4// 000000005C84: D3AC5800 0003379E D3AD8CBC 86F27170
	ds_read_b128 v[88:91], v150 offset:4736                    // 000000005C94: D9FE1280 58000096
	ds_read_b128 v[104:107], v150 offset:4800                  // 000000005C9C: D9FE12C0 68000096
	v_mfma_scale_f32_16x16x128_f8f6f4 a[144:147], v[124:127], v[60:63], a[144:147], v158, v154 op_sel_hi:[0,0,0] cbsz:4 blgp:4// 000000005CA4: D3AC6000 1803359E D3AD8C90 8642797C
	s_add_u32 m0, 0x2100, s66                                  // 000000005CB4: 807C42FF 00002100
	buffer_load_dwordx4 v148, s[8:11], 0 offen lds             // 000000005CBC: E05D1000 80020094
	v_mfma_scale_f32_16x16x128_f8f6f4 a[148:151], v[124:127], v[64:67], a[148:151], v158, v154 op_sel_hi:[0,0,0] cbsz:4 blgp:4// 000000005CC4: D3AC7000 1803359E D3AD8C94 8652817C
	v_mfma_scale_f32_16x16x128_f8f6f4 a[176:179], v[128:131], v[60:63], a[176:179], v158, v154 op_sel_hi:[0,0,0] cbsz:4 blgp:4// 000000005CD4: D3AC6800 1803359E D3AD8CB0 86C27980
	v_mfma_scale_f32_16x16x128_f8f6f4 a[180:183], v[128:131], v[64:67], a[180:183], v158, v154 op_sel_hi:[0,0,0] cbsz:4 blgp:4// 000000005CE4: D3AC7800 1803359E D3AD8CB4 86D28180
	v_mfma_scale_f32_16x16x128_f8f6f4 a[208:211], v[132:135], v[60:63], a[208:211], v159, v154 op_sel_hi:[0,0,0] cbsz:4 blgp:4// 000000005CF4: D3AC6000 1803359F D3AD8CD0 87427984
	v_mfma_scale_f32_16x16x128_f8f6f4 a[212:215], v[132:135], v[64:67], a[212:215], v159, v154 op_sel_hi:[0,0,0] cbsz:4 blgp:4// 000000005D04: D3AC7000 1803359F D3AD8CD4 87528184
	v_mfma_scale_f32_16x16x128_f8f6f4 a[240:243], v[136:139], v[60:63], a[240:243], v159, v154 op_sel_hi:[0,0,0] cbsz:4 blgp:4// 000000005D14: D3AC6800 1803359F D3AD8CF0 87C27988
	v_mfma_scale_f32_16x16x128_f8f6f4 a[244:247], v[136:139], v[64:67], a[244:247], v159, v154 op_sel_hi:[0,0,0] cbsz:4 blgp:4// 000000005D24: D3AC7800 1803359F D3AD8CF4 87D28188
	v_mfma_scale_f32_16x16x128_f8f6f4 a[216:219], v[132:135], v[68:71], a[216:219], v159, v155 op_sel_hi:[0,0,0] cbsz:4 blgp:4// 000000005D34: D3AC6000 1803379F D3AD8CD8 87628984
	s_add_u32 m0, 0x3180, s66                                  // 000000005D44: 807C42FF 00003180
	buffer_load_dwordx4 v149, s[8:11], 0 offen lds             // 000000005D4C: E05D1000 80020095
	v_mfma_scale_f32_16x16x128_f8f6f4 a[220:223], v[132:135], v[72:75], a[220:223], v159, v155 op_sel_hi:[0,0,0] cbsz:4 blgp:4// 000000005D54: D3AC7000 1803379F D3AD8CDC 87729184
	s_add_u32 s31, 0x300, s33                                  // 000000005D64: 801F21FF 00000300
	s_cmp_lt_u32 s31, s34                                      // 000000005D6C: BF0A221F
	s_cselect_b32 s69, s69, 0                                  // 000000005D70: 85458045
	v_mfma_scale_f32_16x16x128_f8f6f4 a[248:251], v[136:139], v[68:71], a[248:251], v159, v155 op_sel_hi:[0,0,0] cbsz:4 blgp:4// 000000005D74: D3AC6800 1803379F D3AD8CF8 87E28988
	s_add_u32 s73, s73, s69                                    // 000000005D84: 80494549
	s_addc_u32 s74, 0, s74                                     // 000000005D88: 824A4A80
	v_mfma_scale_f32_16x16x128_f8f6f4 a[252:255], v[136:139], v[72:75], a[252:255], v159, v155 op_sel_hi:[0,0,0] cbsz:4 blgp:4// 000000005D8C: D3AC7800 1803379F D3AD8CFC 87F29188
	s_mov_b32 s8, s73                                          // 000000005D9C: BE880049
	s_mov_b32 s9, s74                                          // 000000005DA0: BE89004A
	v_mfma_scale_f32_16x16x128_f8f6f4 a[152:155], v[124:127], v[68:71], a[152:155], v158, v155 op_sel_hi:[0,0,0] cbsz:4 blgp:4// 000000005DA4: D3AC6000 1803379E D3AD8C98 8662897C
	v_mfma_scale_f32_16x16x128_f8f6f4 a[156:159], v[124:127], v[72:75], a[156:159], v158, v155 op_sel_hi:[0,0,0] cbsz:4 blgp:4// 000000005DB4: D3AC7000 1803379E D3AD8C9C 8672917C
	v_mfma_scale_f32_16x16x128_f8f6f4 a[184:187], v[128:131], v[68:71], a[184:187], v158, v155 op_sel_hi:[0,0,0] cbsz:4 blgp:4// 000000005DC4: D3AC6800 1803379E D3AD8CB8 86E28980
	v_mfma_scale_f32_16x16x128_f8f6f4 a[188:191], v[128:131], v[72:75], a[188:191], v158, v155 op_sel_hi:[0,0,0] cbsz:4 blgp:4// 000000005DD4: D3AC7800 1803379E D3AD8CBC 86F29180
	s_addk_i32 s33, 0x100                                      // 000000005DE4: B7210100
	s_cmp_lt_i32 s33, s34                                      // 000000005DE8: BF042221
	s_cbranch_scc0 label_0F7F                                  // 000000005DEC: BF8402C3
	s_waitcnt lgkmcnt(0)                                       // 000000005DF0: BF8CC07F
	s_barrier                                                  // 000000005DF4: BF8A0000
	v_mfma_scale_f32_16x16x128_f8f6f4 a[0:3], v[76:79], v[12:15], a[0:3], v156, v152 op_sel_hi:[0,0,0] cbsz:4 blgp:4// 000000005DF8: D3AC6000 0003319C D3AD8C00 8402194C
	s_mov_b32 m0, s59                                          // 000000005E08: BEFC003B
	buffer_load_dwordx4 v140, s[4:7], 0 offen lds              // 000000005E0C: E05D1000 8001008C
	v_mfma_scale_f32_16x16x128_f8f6f4 a[4:7], v[76:79], v[16:19], a[4:7], v156, v152 op_sel_hi:[0,0,0] cbsz:4 blgp:4// 000000005E14: D3AC7000 0003319C D3AD8C04 8412214C
	ds_read_b128 v[44:47], v144 offset:16896                   // 000000005E24: D9FE4200 2C000090
	ds_read_b128 v[60:63], v144 offset:16960                   // 000000005E2C: D9FE4240 3C000090
	v_mfma_scale_f32_16x16x128_f8f6f4 a[32:35], v[80:83], v[12:15], a[32:35], v156, v152 op_sel_hi:[0,0,0] cbsz:4 blgp:4// 000000005E34: D3AC6800 0003319C D3AD8C20 84821950
	ds_read_b32 v154, v164 offset:3072                         // 000000005E44: D86C0C00 9A0000A4
	v_mfma_scale_f32_16x16x128_f8f6f4 a[36:39], v[80:83], v[16:19], a[36:39], v156, v152 op_sel_hi:[0,0,0] cbsz:4 blgp:4// 000000005E4C: D3AC7800 0003319C D3AD8C24 84922150
	ds_read_b128 v[48:51], v144 offset:17408                   // 000000005E5C: D9FE4400 30000090
	ds_read_b128 v[64:67], v144 offset:17472                   // 000000005E64: D9FE4440 40000090
	v_mfma_scale_f32_16x16x128_f8f6f4 a[64:67], v[84:87], v[12:15], a[64:67], v157, v152 op_sel_hi:[0,0,0] cbsz:4 blgp:4// 000000005E6C: D3AC6000 0003319D D3AD8C40 85021954
	ds_read_b32 v155, v164 offset:3328                         // 000000005E7C: D86C0D00 9B0000A4
	v_mfma_scale_f32_16x16x128_f8f6f4 a[68:71], v[84:87], v[16:19], a[68:71], v157, v152 op_sel_hi:[0,0,0] cbsz:4 blgp:4// 000000005E84: D3AC7000 0003319D D3AD8C44 85122154
	ds_read_b128 v[52:55], v144 offset:21120                   // 000000005E94: D9FE5280 34000090
	ds_read_b128 v[68:71], v144 offset:21184                   // 000000005E9C: D9FE52C0 44000090
	v_mfma_scale_f32_16x16x128_f8f6f4 a[96:99], v[88:91], v[12:15], a[96:99], v157, v152 op_sel_hi:[0,0,0] cbsz:4 blgp:4// 000000005EA4: D3AC6800 0003319D D3AD8C60 85821958
	ds_read_b32 v158, v165 offset:3072                         // 000000005EB4: D86C0C00 9E0000A5
	v_mfma_scale_f32_16x16x128_f8f6f4 a[100:103], v[88:91], v[16:19], a[100:103], v157, v152 op_sel_hi:[0,0,0] cbsz:4 blgp:4// 000000005EBC: D3AC7800 0003319D D3AD8C64 85922158
	ds_read_b128 v[56:59], v144 offset:21632                   // 000000005ECC: D9FE5480 38000090
	ds_read_b128 v[72:75], v144 offset:21696                   // 000000005ED4: D9FE54C0 48000090
	v_mov_b32_e32 v144, v145                                   // 000000005EDC: 7F200391
	v_mfma_scale_f32_16x16x128_f8f6f4 a[72:75], v[84:87], v[20:23], a[72:75], v157, v153 op_sel_hi:[0,0,0] cbsz:4 blgp:4// 000000005EE0: D3AC6000 0003339D D3AD8C48 85222954
	s_add_u32 m0, 0x1080, s59                                  // 000000005EF0: 807C3BFF 00001080
	buffer_load_dwordx4 v141, s[4:7], 0 offen lds              // 000000005EF8: E05D1000 8001008D
	v_mfma_scale_f32_16x16x128_f8f6f4 a[76:79], v[84:87], v[24:27], a[76:79], v157, v153 op_sel_hi:[0,0,0] cbsz:4 blgp:4// 000000005F00: D3AC7000 0003339D D3AD8C4C 85323154
	ds_read_b128 v[108:111], v150 offset:16896                 // 000000005F10: D9FE4200 6C000096
	ds_read_b128 v[124:127], v150 offset:16960                 // 000000005F18: D9FE4240 7C000096
	v_mfma_scale_f32_16x16x128_f8f6f4 a[104:107], v[88:91], v[20:23], a[104:107], v157, v153 op_sel_hi:[0,0,0] cbsz:4 blgp:4// 000000005F20: D3AC6800 0003339D D3AD8C68 85A22958
	ds_read_b32 v159, v165 offset:3328                         // 000000005F30: D86C0D00 9F0000A5
	v_mfma_scale_f32_16x16x128_f8f6f4 a[108:111], v[88:91], v[24:27], a[108:111], v157, v153 op_sel_hi:[0,0,0] cbsz:4 blgp:4// 000000005F38: D3AC7800 0003339D D3AD8C6C 85B23158
	ds_read_b128 v[112:115], v150 offset:17408                 // 000000005F48: D9FE4400 70000096
	ds_read_b128 v[128:131], v150 offset:17472                 // 000000005F50: D9FE4440 80000096
	v_mfma_scale_f32_16x16x128_f8f6f4 a[8:11], v[76:79], v[20:23], a[8:11], v156, v153 op_sel_hi:[0,0,0] cbsz:4 blgp:4// 000000005F58: D3AC6000 0003339C D3AD8C08 8422294C
	s_add_u32 m0, s75, 0x800                                   // 000000005F68: 807CFF4B 00000800
	buffer_load_dword v160, s[76:79], 0 offen lds              // 000000005F70: E0511000 801300A0
	v_add_u32_e32 v160, 0x100, v160                            // 000000005F78: 694140FF 00000100
	v_mfma_scale_f32_16x16x128_f8f6f4 a[12:15], v[76:79], v[24:27], a[12:15], v156, v153 op_sel_hi:[0,0,0] cbsz:4 blgp:4// 000000005F80: D3AC7000 0003339C D3AD8C0C 8432314C
	ds_read_b128 v[116:119], v150 offset:21120                 // 000000005F90: D9FE5280 74000096
	ds_read_b128 v[132:135], v150 offset:21184                 // 000000005F98: D9FE52C0 84000096
	v_mfma_scale_f32_16x16x128_f8f6f4 a[40:43], v[80:83], v[20:23], a[40:43], v156, v153 op_sel_hi:[0,0,0] cbsz:4 blgp:4// 000000005FA0: D3AC6800 0003339C D3AD8C28 84A22950
	v_mfma_scale_f32_16x16x128_f8f6f4 a[44:47], v[80:83], v[24:27], a[44:47], v156, v153 op_sel_hi:[0,0,0] cbsz:4 blgp:4// 000000005FB0: D3AC7800 0003339C D3AD8C2C 84B23150
	ds_read_b128 v[120:123], v150 offset:21632                 // 000000005FC0: D9FE5480 78000096
	ds_read_b128 v[136:139], v150 offset:21696                 // 000000005FC8: D9FE54C0 88000096
	v_mov_b32_e32 v150, v151                                   // 000000005FD0: 7F2C0397
	v_mfma_scale_f32_16x16x128_f8f6f4 a[0:3], v[92:95], v[28:31], a[0:3], v156, v152 op_sel_hi:[0,0,0] cbsz:4 blgp:4// 000000005FD4: D3AC6000 1803319C D3AD8C00 8402395C
	s_add_u32 m0, 0x2100, s59                                  // 000000005FE4: 807C3BFF 00002100
	buffer_load_dwordx4 v142, s[4:7], 0 offen lds              // 000000005FEC: E05D1000 8001008E
	v_mfma_scale_f32_16x16x128_f8f6f4 a[4:7], v[92:95], v[32:35], a[4:7], v156, v152 op_sel_hi:[0,0,0] cbsz:4 blgp:4// 000000005FF4: D3AC7000 1803319C D3AD8C04 8412415C
	v_mfma_scale_f32_16x16x128_f8f6f4 a[32:35], v[96:99], v[28:31], a[32:35], v156, v152 op_sel_hi:[0,0,0] cbsz:4 blgp:4// 000000006004: D3AC6800 1803319C D3AD8C20 84823960
	v_mfma_scale_f32_16x16x128_f8f6f4 a[36:39], v[96:99], v[32:35], a[36:39], v156, v152 op_sel_hi:[0,0,0] cbsz:4 blgp:4// 000000006014: D3AC7800 1803319C D3AD8C24 84924160
	v_mfma_scale_f32_16x16x128_f8f6f4 a[64:67], v[100:103], v[28:31], a[64:67], v157, v152 op_sel_hi:[0,0,0] cbsz:4 blgp:4// 000000006024: D3AC6000 1803319D D3AD8C40 85023964
	v_mfma_scale_f32_16x16x128_f8f6f4 a[68:71], v[100:103], v[32:35], a[68:71], v157, v152 op_sel_hi:[0,0,0] cbsz:4 blgp:4// 000000006034: D3AC7000 1803319D D3AD8C44 85124164
	v_mfma_scale_f32_16x16x128_f8f6f4 a[96:99], v[104:107], v[28:31], a[96:99], v157, v152 op_sel_hi:[0,0,0] cbsz:4 blgp:4// 000000006044: D3AC6800 1803319D D3AD8C60 85823968
	v_mfma_scale_f32_16x16x128_f8f6f4 a[100:103], v[104:107], v[32:35], a[100:103], v157, v152 op_sel_hi:[0,0,0] cbsz:4 blgp:4// 000000006054: D3AC7800 1803319D D3AD8C64 85924168
	v_mfma_scale_f32_16x16x128_f8f6f4 a[72:75], v[100:103], v[36:39], a[72:75], v157, v153 op_sel_hi:[0,0,0] cbsz:4 blgp:4// 000000006064: D3AC6000 1803339D D3AD8C48 85224964
	s_add_u32 m0, 0x3180, s59                                  // 000000006074: 807C3BFF 00003180
	buffer_load_dwordx4 v143, s[4:7], 0 offen lds              // 00000000607C: E05D1000 8001008F
	v_mfma_scale_f32_16x16x128_f8f6f4 a[76:79], v[100:103], v[40:43], a[76:79], v157, v153 op_sel_hi:[0,0,0] cbsz:4 blgp:4// 000000006084: D3AC7000 1803339D D3AD8C4C 85325164
	s_add_u32 s4, s61, s4                                      // 000000006094: 8004043D
	s_addc_u32 s5, 0, s5                                       // 000000006098: 82050580
	s_sub_u32 s6, s6, s61                                      // 00000000609C: 80863D06
	v_mfma_scale_f32_16x16x128_f8f6f4 a[104:107], v[104:107], v[36:39], a[104:107], v157, v153 op_sel_hi:[0,0,0] cbsz:4 blgp:4// 0000000060A0: D3AC6800 1803339D D3AD8C68 85A24968
	v_mfma_scale_f32_16x16x128_f8f6f4 a[108:111], v[104:107], v[40:43], a[108:111], v157, v153 op_sel_hi:[0,0,0] cbsz:4 blgp:4// 0000000060B0: D3AC7800 1803339D D3AD8C6C 85B25168
	v_mfma_scale_f32_16x16x128_f8f6f4 a[8:11], v[92:95], v[36:39], a[8:11], v156, v153 op_sel_hi:[0,0,0] cbsz:4 blgp:4// 0000000060C0: D3AC6000 1803339C D3AD8C08 8422495C
	v_mfma_scale_f32_16x16x128_f8f6f4 a[12:15], v[92:95], v[40:43], a[12:15], v156, v153 op_sel_hi:[0,0,0] cbsz:4 blgp:4// 0000000060D0: D3AC7000 1803339C D3AD8C0C 8432515C
	v_mfma_scale_f32_16x16x128_f8f6f4 a[40:43], v[96:99], v[36:39], a[40:43], v156, v153 op_sel_hi:[0,0,0] cbsz:4 blgp:4// 0000000060E0: D3AC6800 1803339C D3AD8C28 84A24960
	v_mfma_scale_f32_16x16x128_f8f6f4 a[44:47], v[96:99], v[40:43], a[44:47], v156, v153 op_sel_hi:[0,0,0] cbsz:4 blgp:4// 0000000060F0: D3AC7800 1803339C D3AD8C2C 84B25160
	s_waitcnt lgkmcnt(0)                                       // 000000006100: BF8CC07F
	s_barrier                                                  // 000000006104: BF8A0000
	v_mfma_scale_f32_16x16x128_f8f6f4 a[128:131], v[108:111], v[12:15], a[128:131], v158, v152 op_sel_hi:[0,0,0] cbsz:4 blgp:4// 000000006108: D3AC6000 0003319E D3AD8C80 8602196C
	s_mov_b32 m0, s67                                          // 000000006118: BEFC0043
	buffer_load_dwordx4 v146, s[8:11], 0 offen lds             // 00000000611C: E05D1000 80020092
	v_mfma_scale_f32_16x16x128_f8f6f4 a[132:135], v[108:111], v[16:19], a[132:135], v158, v152 op_sel_hi:[0,0,0] cbsz:4 blgp:4// 000000006124: D3AC7000 0003319E D3AD8C84 8612216C
	v_mfma_scale_f32_16x16x128_f8f6f4 a[160:163], v[112:115], v[12:15], a[160:163], v158, v152 op_sel_hi:[0,0,0] cbsz:4 blgp:4// 000000006134: D3AC6800 0003319E D3AD8CA0 86821970
	s_add_u32 m0, s95, 0x800                                   // 000000006144: 807CFF5F 00000800
	buffer_load_dword v162, s[80:83], 0 offen lds              // 00000000614C: E0511000 801400A2
	v_add_u32_e32 v162, 0x100, v162                            // 000000006154: 694544FF 00000100
	v_mfma_scale_f32_16x16x128_f8f6f4 a[164:167], v[112:115], v[16:19], a[164:167], v158, v152 op_sel_hi:[0,0,0] cbsz:4 blgp:4// 00000000615C: D3AC7800 0003319E D3AD8CA4 86922170
	v_mfma_scale_f32_16x16x128_f8f6f4 a[192:195], v[116:119], v[12:15], a[192:195], v159, v152 op_sel_hi:[0,0,0] cbsz:4 blgp:4// 00000000616C: D3AC6000 0003319F D3AD8CC0 87021974
	v_mfma_scale_f32_16x16x128_f8f6f4 a[196:199], v[116:119], v[16:19], a[196:199], v159, v152 op_sel_hi:[0,0,0] cbsz:4 blgp:4// 00000000617C: D3AC7000 0003319F D3AD8CC4 87122174
	v_mfma_scale_f32_16x16x128_f8f6f4 a[224:227], v[120:123], v[12:15], a[224:227], v159, v152 op_sel_hi:[0,0,0] cbsz:4 blgp:4// 00000000618C: D3AC6800 0003319F D3AD8CE0 87821978
	v_mfma_scale_f32_16x16x128_f8f6f4 a[228:231], v[120:123], v[16:19], a[228:231], v159, v152 op_sel_hi:[0,0,0] cbsz:4 blgp:4// 00000000619C: D3AC7800 0003319F D3AD8CE4 87922178
	v_mfma_scale_f32_16x16x128_f8f6f4 a[200:203], v[116:119], v[20:23], a[200:203], v159, v153 op_sel_hi:[0,0,0] cbsz:4 blgp:4// 0000000061AC: D3AC6000 0003339F D3AD8CC8 87222974
	s_add_u32 m0, 0x1080, s67                                  // 0000000061BC: 807C43FF 00001080
	buffer_load_dwordx4 v147, s[8:11], 0 offen lds             // 0000000061C4: E05D1000 80020093
	v_mfma_scale_f32_16x16x128_f8f6f4 a[204:207], v[116:119], v[24:27], a[204:207], v159, v153 op_sel_hi:[0,0,0] cbsz:4 blgp:4// 0000000061CC: D3AC7000 0003339F D3AD8CCC 87323174
	v_mfma_scale_f32_16x16x128_f8f6f4 a[232:235], v[120:123], v[20:23], a[232:235], v159, v153 op_sel_hi:[0,0,0] cbsz:4 blgp:4// 0000000061DC: D3AC6800 0003339F D3AD8CE8 87A22978
	v_mfma_scale_f32_16x16x128_f8f6f4 a[236:239], v[120:123], v[24:27], a[236:239], v159, v153 op_sel_hi:[0,0,0] cbsz:4 blgp:4// 0000000061EC: D3AC5800 0003339F D3AD8CEC 87B23178
	v_mfma_scale_f32_16x16x128_f8f6f4 a[136:139], v[108:111], v[20:23], a[136:139], v158, v153 op_sel_hi:[0,0,0] cbsz:4 blgp:4// 0000000061FC: D3AC6000 0003339E D3AD8C88 8622296C
	v_mfma_scale_f32_16x16x128_f8f6f4 a[140:143], v[108:111], v[24:27], a[140:143], v158, v153 op_sel_hi:[0,0,0] cbsz:4 blgp:4// 00000000620C: D3AC7000 0003339E D3AD8C8C 8632316C
	v_mfma_scale_f32_16x16x128_f8f6f4 a[168:171], v[112:115], v[20:23], a[168:171], v158, v153 op_sel_hi:[0,0,0] cbsz:4 blgp:4// 00000000621C: D3AC6800 0003339E D3AD8CA8 86A22970
	v_mfma_scale_f32_16x16x128_f8f6f4 a[172:175], v[112:115], v[24:27], a[172:175], v158, v153 op_sel_hi:[0,0,0] cbsz:4 blgp:4// 00000000622C: D3AC7800 0003339E D3AD8CAC 86B23170
	v_mfma_scale_f32_16x16x128_f8f6f4 a[128:131], v[124:127], v[28:31], a[128:131], v158, v152 op_sel_hi:[0,0,0] cbsz:4 blgp:4// 00000000623C: D3AC6000 1803319E D3AD8C80 8602397C
	s_add_u32 m0, 0x2100, s67                                  // 00000000624C: 807C43FF 00002100
	buffer_load_dwordx4 v148, s[8:11], 0 offen lds             // 000000006254: E05D1000 80020094
	v_mfma_scale_f32_16x16x128_f8f6f4 a[132:135], v[124:127], v[32:35], a[132:135], v158, v152 op_sel_hi:[0,0,0] cbsz:4 blgp:4// 00000000625C: D3AC7000 1803319E D3AD8C84 8612417C
	v_mfma_scale_f32_16x16x128_f8f6f4 a[160:163], v[128:131], v[28:31], a[160:163], v158, v152 op_sel_hi:[0,0,0] cbsz:4 blgp:4// 00000000626C: D3AC6800 1803319E D3AD8CA0 86823980
	v_mfma_scale_f32_16x16x128_f8f6f4 a[164:167], v[128:131], v[32:35], a[164:167], v158, v152 op_sel_hi:[0,0,0] cbsz:4 blgp:4// 00000000627C: D3AC7800 1803319E D3AD8CA4 86924180
	v_mfma_scale_f32_16x16x128_f8f6f4 a[192:195], v[132:135], v[28:31], a[192:195], v159, v152 op_sel_hi:[0,0,0] cbsz:4 blgp:4// 00000000628C: D3AC6000 1803319F D3AD8CC0 87023984
	v_mfma_scale_f32_16x16x128_f8f6f4 a[196:199], v[132:135], v[32:35], a[196:199], v159, v152 op_sel_hi:[0,0,0] cbsz:4 blgp:4// 00000000629C: D3AC7000 1803319F D3AD8CC4 87124184
	v_mfma_scale_f32_16x16x128_f8f6f4 a[224:227], v[136:139], v[28:31], a[224:227], v159, v152 op_sel_hi:[0,0,0] cbsz:4 blgp:4// 0000000062AC: D3AC6800 1803319F D3AD8CE0 87823988
	v_mfma_scale_f32_16x16x128_f8f6f4 a[228:231], v[136:139], v[32:35], a[228:231], v159, v152 op_sel_hi:[0,0,0] cbsz:4 blgp:4// 0000000062BC: D3AC7800 1803319F D3AD8CE4 87924188
	v_mfma_scale_f32_16x16x128_f8f6f4 a[200:203], v[132:135], v[36:39], a[200:203], v159, v153 op_sel_hi:[0,0,0] cbsz:4 blgp:4// 0000000062CC: D3AC6000 1803339F D3AD8CC8 87224984
	s_add_u32 m0, 0x3180, s67                                  // 0000000062DC: 807C43FF 00003180
	buffer_load_dwordx4 v149, s[8:11], 0 offen lds             // 0000000062E4: E05D1000 80020095
	v_mfma_scale_f32_16x16x128_f8f6f4 a[204:207], v[132:135], v[40:43], a[204:207], v159, v153 op_sel_hi:[0,0,0] cbsz:4 blgp:4// 0000000062EC: D3AC7000 1803339F D3AD8CCC 87325184
	s_add_u32 s8, s70, s8                                      // 0000000062FC: 80080846
	s_addc_u32 s9, 0, s9                                       // 000000006300: 82090980
	v_mfma_scale_f32_16x16x128_f8f6f4 a[232:235], v[136:139], v[36:39], a[232:235], v159, v153 op_sel_hi:[0,0,0] cbsz:4 blgp:4// 000000006304: D3AC6800 1803339F D3AD8CE8 87A24988
	v_mfma_scale_f32_16x16x128_f8f6f4 a[236:239], v[136:139], v[40:43], a[236:239], v159, v153 op_sel_hi:[0,0,0] cbsz:4 blgp:4// 000000006314: D3AC5800 1803339F D3AD8CEC 87B25188
	v_mfma_scale_f32_16x16x128_f8f6f4 a[136:139], v[124:127], v[36:39], a[136:139], v158, v153 op_sel_hi:[0,0,0] cbsz:4 blgp:4// 000000006324: D3AC6000 1803339E D3AD8C88 8622497C
	v_mfma_scale_f32_16x16x128_f8f6f4 a[140:143], v[124:127], v[40:43], a[140:143], v158, v153 op_sel_hi:[0,0,0] cbsz:4 blgp:4// 000000006334: D3AC7000 1803339E D3AD8C8C 8632517C
	v_mfma_scale_f32_16x16x128_f8f6f4 a[168:171], v[128:131], v[36:39], a[168:171], v158, v153 op_sel_hi:[0,0,0] cbsz:4 blgp:4// 000000006344: D3AC6800 1803339E D3AD8CA8 86A24980
	v_mfma_scale_f32_16x16x128_f8f6f4 a[172:175], v[128:131], v[40:43], a[172:175], v158, v153 op_sel_hi:[0,0,0] cbsz:4 blgp:4// 000000006354: D3AC7800 1803339E D3AD8CAC 86B25180
	v_mfma_scale_f32_16x16x128_f8f6f4 a[16:19], v[76:79], v[44:47], a[16:19], v156, v154 op_sel_hi:[0,0,0] cbsz:4 blgp:4// 000000006364: D3AC6000 0003359C D3AD8C10 8442594C
	s_mov_b32 m0, s60                                          // 000000006374: BEFC003C
	buffer_load_dwordx4 v140, s[12:15], 0 offen lds            // 000000006378: E05D1000 8003008C
	v_mfma_scale_f32_16x16x128_f8f6f4 a[20:23], v[76:79], v[48:51], a[20:23], v156, v154 op_sel_hi:[0,0,0] cbsz:4 blgp:4// 000000006380: D3AC7000 0003359C D3AD8C14 8452614C
	v_mfma_scale_f32_16x16x128_f8f6f4 a[48:51], v[80:83], v[44:47], a[48:51], v156, v154 op_sel_hi:[0,0,0] cbsz:4 blgp:4// 000000006390: D3AC6800 0003359C D3AD8C30 84C25950
	s_add_u32 m0, s75, 0xc00                                   // 0000000063A0: 807CFF4B 00000C00
	buffer_load_dword v161, s[76:79], 0 offen lds              // 0000000063A8: E0511000 801300A1
	v_add_u32_e32 v161, 0x100, v161                            // 0000000063B0: 694342FF 00000100
	v_mfma_scale_f32_16x16x128_f8f6f4 a[52:55], v[80:83], v[48:51], a[52:55], v156, v154 op_sel_hi:[0,0,0] cbsz:4 blgp:4// 0000000063B8: D3AC7800 0003359C D3AD8C34 84D26150
	v_mfma_scale_f32_16x16x128_f8f6f4 a[80:83], v[84:87], v[44:47], a[80:83], v157, v154 op_sel_hi:[0,0,0] cbsz:4 blgp:4// 0000000063C8: D3AC6000 0003359D D3AD8C50 85425954
	v_mfma_scale_f32_16x16x128_f8f6f4 a[84:87], v[84:87], v[48:51], a[84:87], v157, v154 op_sel_hi:[0,0,0] cbsz:4 blgp:4// 0000000063D8: D3AC7000 0003359D D3AD8C54 85526154
	v_mfma_scale_f32_16x16x128_f8f6f4 a[112:115], v[88:91], v[44:47], a[112:115], v157, v154 op_sel_hi:[0,0,0] cbsz:4 blgp:4// 0000000063E8: D3AC6800 0003359D D3AD8C70 85C25958
	v_mfma_scale_f32_16x16x128_f8f6f4 a[116:119], v[88:91], v[48:51], a[116:119], v157, v154 op_sel_hi:[0,0,0] cbsz:4 blgp:4// 0000000063F8: D3AC7800 0003359D D3AD8C74 85D26158
	v_mfma_scale_f32_16x16x128_f8f6f4 a[88:91], v[84:87], v[52:55], a[88:91], v157, v155 op_sel_hi:[0,0,0] cbsz:4 blgp:4// 000000006408: D3AC6000 0003379D D3AD8C58 85626954
	s_add_u32 m0, 0x1080, s60                                  // 000000006418: 807C3CFF 00001080
	buffer_load_dwordx4 v141, s[12:15], 0 offen lds            // 000000006420: E05D1000 8003008D
	v_mfma_scale_f32_16x16x128_f8f6f4 a[92:95], v[84:87], v[56:59], a[92:95], v157, v155 op_sel_hi:[0,0,0] cbsz:4 blgp:4// 000000006428: D3AC7000 0003379D D3AD8C5C 85727154
	v_mfma_scale_f32_16x16x128_f8f6f4 a[120:123], v[88:91], v[52:55], a[120:123], v157, v155 op_sel_hi:[0,0,0] cbsz:4 blgp:4// 000000006438: D3AC6800 0003379D D3AD8C78 85E26958
	v_mfma_scale_f32_16x16x128_f8f6f4 a[124:127], v[88:91], v[56:59], a[124:127], v157, v155 op_sel_hi:[0,0,0] cbsz:4 blgp:4// 000000006448: D3AC7800 0003379D D3AD8C7C 85F27158
	v_mfma_scale_f32_16x16x128_f8f6f4 a[24:27], v[76:79], v[52:55], a[24:27], v156, v155 op_sel_hi:[0,0,0] cbsz:4 blgp:4// 000000006458: D3AC6000 0003379C D3AD8C18 8462694C
	v_mfma_scale_f32_16x16x128_f8f6f4 a[28:31], v[76:79], v[56:59], a[28:31], v156, v155 op_sel_hi:[0,0,0] cbsz:4 blgp:4// 000000006468: D3AC7000 0003379C D3AD8C1C 8472714C
	v_mfma_scale_f32_16x16x128_f8f6f4 a[56:59], v[80:83], v[52:55], a[56:59], v156, v155 op_sel_hi:[0,0,0] cbsz:4 blgp:4// 000000006478: D3AC6800 0003379C D3AD8C38 84E26950
	v_mfma_scale_f32_16x16x128_f8f6f4 a[60:63], v[80:83], v[56:59], a[60:63], v156, v155 op_sel_hi:[0,0,0] cbsz:4 blgp:4// 000000006488: D3AC7800 0003379C D3AD8C3C 84F27150
	v_mfma_scale_f32_16x16x128_f8f6f4 a[16:19], v[92:95], v[60:63], a[16:19], v156, v154 op_sel_hi:[0,0,0] cbsz:4 blgp:4// 000000006498: D3AC6000 1803359C D3AD8C10 8442795C
	s_add_u32 m0, 0x2100, s60                                  // 0000000064A8: 807C3CFF 00002100
	buffer_load_dwordx4 v142, s[12:15], 0 offen lds            // 0000000064B0: E05D1000 8003008E
	v_mfma_scale_f32_16x16x128_f8f6f4 a[20:23], v[92:95], v[64:67], a[20:23], v156, v154 op_sel_hi:[0,0,0] cbsz:4 blgp:4// 0000000064B8: D3AC7000 1803359C D3AD8C14 8452815C
	v_mfma_scale_f32_16x16x128_f8f6f4 a[48:51], v[96:99], v[60:63], a[48:51], v156, v154 op_sel_hi:[0,0,0] cbsz:4 blgp:4// 0000000064C8: D3AC6800 1803359C D3AD8C30 84C27960
	v_mfma_scale_f32_16x16x128_f8f6f4 a[52:55], v[96:99], v[64:67], a[52:55], v156, v154 op_sel_hi:[0,0,0] cbsz:4 blgp:4// 0000000064D8: D3AC7800 1803359C D3AD8C34 84D28160
	v_mfma_scale_f32_16x16x128_f8f6f4 a[80:83], v[100:103], v[60:63], a[80:83], v157, v154 op_sel_hi:[0,0,0] cbsz:4 blgp:4// 0000000064E8: D3AC6000 1803359D D3AD8C50 85427964
	v_mfma_scale_f32_16x16x128_f8f6f4 a[84:87], v[100:103], v[64:67], a[84:87], v157, v154 op_sel_hi:[0,0,0] cbsz:4 blgp:4// 0000000064F8: D3AC7000 1803359D D3AD8C54 85528164
	v_mfma_scale_f32_16x16x128_f8f6f4 a[112:115], v[104:107], v[60:63], a[112:115], v157, v154 op_sel_hi:[0,0,0] cbsz:4 blgp:4// 000000006508: D3AC6800 1803359D D3AD8C70 85C27968
	v_mfma_scale_f32_16x16x128_f8f6f4 a[116:119], v[104:107], v[64:67], a[116:119], v157, v154 op_sel_hi:[0,0,0] cbsz:4 blgp:4// 000000006518: D3AC7800 1803359D D3AD8C74 85D28168
	v_mfma_scale_f32_16x16x128_f8f6f4 a[88:91], v[100:103], v[68:71], a[88:91], v157, v155 op_sel_hi:[0,0,0] cbsz:4 blgp:4// 000000006528: D3AC6000 1803379D D3AD8C58 85628964
	s_add_u32 m0, 0x3180, s60                                  // 000000006538: 807C3CFF 00003180
	buffer_load_dwordx4 v143, s[12:15], 0 offen lds            // 000000006540: E05D1000 8003008F
	v_mfma_scale_f32_16x16x128_f8f6f4 a[92:95], v[100:103], v[72:75], a[92:95], v157, v155 op_sel_hi:[0,0,0] cbsz:4 blgp:4// 000000006548: D3AC7000 1803379D D3AD8C5C 85729164
	s_add_u32 s31, 0x300, s33                                  // 000000006558: 801F21FF 00000300
	s_cmp_lt_u32 s31, s34                                      // 000000006560: BF0A221F
	s_cselect_b32 s61, s61, 0                                  // 000000006564: 853D803D
	s_cselect_b32 s21, s21, 0                                  // 000000006568: 85158015
	v_mfma_scale_f32_16x16x128_f8f6f4 a[120:123], v[104:107], v[68:71], a[120:123], v157, v155 op_sel_hi:[0,0,0] cbsz:4 blgp:4// 00000000656C: D3AC6800 1803379D D3AD8C78 85E28968
	s_add_u32 s12, s61, s12                                    // 00000000657C: 800C0C3D
	s_addc_u32 s13, 0, s13                                     // 000000006580: 820D0D80
	v_mfma_scale_f32_16x16x128_f8f6f4 a[124:127], v[104:107], v[72:75], a[124:127], v157, v155 op_sel_hi:[0,0,0] cbsz:4 blgp:4// 000000006584: D3AC7800 1803379D D3AD8C7C 85F29168
	s_sub_u32 s14, s14, s21                                    // 000000006594: 808E150E
	v_mfma_scale_f32_16x16x128_f8f6f4 a[24:27], v[92:95], v[68:71], a[24:27], v156, v155 op_sel_hi:[0,0,0] cbsz:4 blgp:4// 000000006598: D3AC6000 1803379C D3AD8C18 8462895C
	v_mfma_scale_f32_16x16x128_f8f6f4 a[28:31], v[92:95], v[72:75], a[28:31], v156, v155 op_sel_hi:[0,0,0] cbsz:4 blgp:4// 0000000065A8: D3AC7000 1803379C D3AD8C1C 8472915C
	v_mfma_scale_f32_16x16x128_f8f6f4 a[56:59], v[96:99], v[68:71], a[56:59], v156, v155 op_sel_hi:[0,0,0] cbsz:4 blgp:4// 0000000065B8: D3AC6800 1803379C D3AD8C38 84E28960
	v_mfma_scale_f32_16x16x128_f8f6f4 a[60:63], v[96:99], v[72:75], a[60:63], v156, v155 op_sel_hi:[0,0,0] cbsz:4 blgp:4// 0000000065C8: D3AC7800 1803379C D3AD8C3C 84F29160
	s_waitcnt vmcnt(15) lgkmcnt(0)                             // 0000000065D8: BF8C007F
	s_barrier                                                  // 0000000065DC: BF8A0000
	v_mfma_scale_f32_16x16x128_f8f6f4 a[144:147], v[108:111], v[44:47], a[144:147], v158, v154 op_sel_hi:[0,0,0] cbsz:4 blgp:4// 0000000065E0: D3AC6000 0003359E D3AD8C90 8642596C
	s_mov_b32 m0, s68                                          // 0000000065F0: BEFC0044
	buffer_load_dwordx4 v146, s[8:11], 0 offen lds             // 0000000065F4: E05D1000 80020092
	v_mfma_scale_f32_16x16x128_f8f6f4 a[148:151], v[108:111], v[48:51], a[148:151], v158, v154 op_sel_hi:[0,0,0] cbsz:4 blgp:4// 0000000065FC: D3AC7000 0003359E D3AD8C94 8652616C
	ds_read_b128 v[12:15], v144                                // 00000000660C: D9FE0000 0C000090
	ds_read_b128 v[28:31], v144 offset:64                      // 000000006614: D9FE0040 1C000090
	v_mfma_scale_f32_16x16x128_f8f6f4 a[176:179], v[112:115], v[44:47], a[176:179], v158, v154 op_sel_hi:[0,0,0] cbsz:4 blgp:4// 00000000661C: D3AC6800 0003359E D3AD8CB0 86C25970
	ds_read_b32 v152, v164                                     // 00000000662C: D86C0000 980000A4
	v_mfma_scale_f32_16x16x128_f8f6f4 a[180:183], v[112:115], v[48:51], a[180:183], v158, v154 op_sel_hi:[0,0,0] cbsz:4 blgp:4// 000000006634: D3AC7800 0003359E D3AD8CB4 86D26170
	ds_read_b128 v[16:19], v144 offset:512                     // 000000006644: D9FE0200 10000090
	ds_read_b128 v[32:35], v144 offset:576                     // 00000000664C: D9FE0240 20000090
	v_mfma_scale_f32_16x16x128_f8f6f4 a[208:211], v[116:119], v[44:47], a[208:211], v159, v154 op_sel_hi:[0,0,0] cbsz:4 blgp:4// 000000006654: D3AC6000 0003359F D3AD8CD0 87425974
	ds_read_b32 v153, v164 offset:256                          // 000000006664: D86C0100 990000A4
	v_mfma_scale_f32_16x16x128_f8f6f4 a[212:215], v[116:119], v[48:51], a[212:215], v159, v154 op_sel_hi:[0,0,0] cbsz:4 blgp:4// 00000000666C: D3AC7000 0003359F D3AD8CD4 87526174
	ds_read_b128 v[20:23], v144 offset:4224                    // 00000000667C: D9FE1080 14000090
	ds_read_b128 v[36:39], v144 offset:4288                    // 000000006684: D9FE10C0 24000090
	v_mfma_scale_f32_16x16x128_f8f6f4 a[240:243], v[120:123], v[44:47], a[240:243], v159, v154 op_sel_hi:[0,0,0] cbsz:4 blgp:4// 00000000668C: D3AC6800 0003359F D3AD8CF0 87C25978
	ds_read_b32 v156, v165                                     // 00000000669C: D86C0000 9C0000A5
	v_mfma_scale_f32_16x16x128_f8f6f4 a[244:247], v[120:123], v[48:51], a[244:247], v159, v154 op_sel_hi:[0,0,0] cbsz:4 blgp:4// 0000000066A4: D3AC7800 0003359F D3AD8CF4 87D26178
	ds_read_b128 v[24:27], v144 offset:4736                    // 0000000066B4: D9FE1280 18000090
	ds_read_b128 v[40:43], v144 offset:4800                    // 0000000066BC: D9FE12C0 28000090
	v_mfma_scale_f32_16x16x128_f8f6f4 a[216:219], v[116:119], v[52:55], a[216:219], v159, v155 op_sel_hi:[0,0,0] cbsz:4 blgp:4// 0000000066C4: D3AC6000 0003379F D3AD8CD8 87626974
	s_add_u32 m0, 0x1080, s68                                  // 0000000066D4: 807C44FF 00001080
	buffer_load_dwordx4 v147, s[8:11], 0 offen lds             // 0000000066DC: E05D1000 80020093
	v_mfma_scale_f32_16x16x128_f8f6f4 a[220:223], v[116:119], v[56:59], a[220:223], v159, v155 op_sel_hi:[0,0,0] cbsz:4 blgp:4// 0000000066E4: D3AC7000 0003379F D3AD8CDC 87727174
	ds_read_b128 v[76:79], v150                                // 0000000066F4: D9FE0000 4C000096
	ds_read_b128 v[92:95], v150 offset:64                      // 0000000066FC: D9FE0040 5C000096
	v_mfma_scale_f32_16x16x128_f8f6f4 a[248:251], v[120:123], v[52:55], a[248:251], v159, v155 op_sel_hi:[0,0,0] cbsz:4 blgp:4// 000000006704: D3AC4800 0003379F D3AD8CF8 87E26978
	ds_read_b32 v157, v165 offset:256                          // 000000006714: D86C0100 9D0000A5
	v_mfma_scale_f32_16x16x128_f8f6f4 a[252:255], v[120:123], v[56:59], a[252:255], v159, v155 op_sel_hi:[0,0,0] cbsz:4 blgp:4// 00000000671C: D3AC7800 0003379F D3AD8CFC 87F27178
	ds_read_b128 v[80:83], v150 offset:512                     // 00000000672C: D9FE0200 50000096
	ds_read_b128 v[96:99], v150 offset:576                     // 000000006734: D9FE0240 60000096
	v_mfma_scale_f32_16x16x128_f8f6f4 a[152:155], v[108:111], v[52:55], a[152:155], v158, v155 op_sel_hi:[0,0,0] cbsz:4 blgp:4// 00000000673C: D3AC6000 0003379E D3AD8C98 8662696C
	s_add_u32 m0, s95, 0xc00                                   // 00000000674C: 807CFF5F 00000C00
	buffer_load_dword v163, s[80:83], 0 offen lds              // 000000006754: E0511000 801400A3
	v_add_u32_e32 v163, 0x100, v163                            // 00000000675C: 694746FF 00000100
	v_mfma_scale_f32_16x16x128_f8f6f4 a[156:159], v[108:111], v[56:59], a[156:159], v158, v155 op_sel_hi:[0,0,0] cbsz:4 blgp:4// 000000006764: D3AC7000 0003379E D3AD8C9C 8672716C
	ds_read_b128 v[84:87], v150 offset:4224                    // 000000006774: D9FE1080 54000096
	ds_read_b128 v[100:103], v150 offset:4288                  // 00000000677C: D9FE10C0 64000096
	v_mfma_scale_f32_16x16x128_f8f6f4 a[184:187], v[112:115], v[52:55], a[184:187], v158, v155 op_sel_hi:[0,0,0] cbsz:4 blgp:4// 000000006784: D3AC6800 0003379E D3AD8CB8 86E26970
	v_mfma_scale_f32_16x16x128_f8f6f4 a[188:191], v[112:115], v[56:59], a[188:191], v158, v155 op_sel_hi:[0,0,0] cbsz:4 blgp:4// 000000006794: D3AC7800 0003379E D3AD8CBC 86F27170
	ds_read_b128 v[88:91], v150 offset:4736                    // 0000000067A4: D9FE1280 58000096
	ds_read_b128 v[104:107], v150 offset:4800                  // 0000000067AC: D9FE12C0 68000096
	v_mfma_scale_f32_16x16x128_f8f6f4 a[144:147], v[124:127], v[60:63], a[144:147], v158, v154 op_sel_hi:[0,0,0] cbsz:4 blgp:4// 0000000067B4: D3AC6000 1803359E D3AD8C90 8642797C
	s_add_u32 m0, 0x2100, s68                                  // 0000000067C4: 807C44FF 00002100
	buffer_load_dwordx4 v148, s[8:11], 0 offen lds             // 0000000067CC: E05D1000 80020094
	v_mfma_scale_f32_16x16x128_f8f6f4 a[148:151], v[124:127], v[64:67], a[148:151], v158, v154 op_sel_hi:[0,0,0] cbsz:4 blgp:4// 0000000067D4: D3AC7000 1803359E D3AD8C94 8652817C
	v_mfma_scale_f32_16x16x128_f8f6f4 a[176:179], v[128:131], v[60:63], a[176:179], v158, v154 op_sel_hi:[0,0,0] cbsz:4 blgp:4// 0000000067E4: D3AC6800 1803359E D3AD8CB0 86C27980
	v_mfma_scale_f32_16x16x128_f8f6f4 a[180:183], v[128:131], v[64:67], a[180:183], v158, v154 op_sel_hi:[0,0,0] cbsz:4 blgp:4// 0000000067F4: D3AC7800 1803359E D3AD8CB4 86D28180
	v_mfma_scale_f32_16x16x128_f8f6f4 a[208:211], v[132:135], v[60:63], a[208:211], v159, v154 op_sel_hi:[0,0,0] cbsz:4 blgp:4// 000000006804: D3AC6000 1803359F D3AD8CD0 87427984
	v_mfma_scale_f32_16x16x128_f8f6f4 a[212:215], v[132:135], v[64:67], a[212:215], v159, v154 op_sel_hi:[0,0,0] cbsz:4 blgp:4// 000000006814: D3AC7000 1803359F D3AD8CD4 87528184
	v_mfma_scale_f32_16x16x128_f8f6f4 a[240:243], v[136:139], v[60:63], a[240:243], v159, v154 op_sel_hi:[0,0,0] cbsz:4 blgp:4// 000000006824: D3AC6800 1803359F D3AD8CF0 87C27988
	v_mfma_scale_f32_16x16x128_f8f6f4 a[244:247], v[136:139], v[64:67], a[244:247], v159, v154 op_sel_hi:[0,0,0] cbsz:4 blgp:4// 000000006834: D3AC7800 1803359F D3AD8CF4 87D28188
	v_mfma_scale_f32_16x16x128_f8f6f4 a[216:219], v[132:135], v[68:71], a[216:219], v159, v155 op_sel_hi:[0,0,0] cbsz:4 blgp:4// 000000006844: D3AC6000 1803379F D3AD8CD8 87628984
	s_add_u32 m0, 0x3180, s68                                  // 000000006854: 807C44FF 00003180
	buffer_load_dwordx4 v149, s[8:11], 0 offen lds             // 00000000685C: E05D1000 80020095
	v_mfma_scale_f32_16x16x128_f8f6f4 a[220:223], v[132:135], v[72:75], a[220:223], v159, v155 op_sel_hi:[0,0,0] cbsz:4 blgp:4// 000000006864: D3AC7000 1803379F D3AD8CDC 87729184
	s_add_u32 s31, 0x300, s33                                  // 000000006874: 801F21FF 00000300
	s_cmp_lt_u32 s31, s34                                      // 00000000687C: BF0A221F
	s_cselect_b32 s69, s69, 0                                  // 000000006880: 85458045
	v_mfma_scale_f32_16x16x128_f8f6f4 a[248:251], v[136:139], v[68:71], a[248:251], v159, v155 op_sel_hi:[0,0,0] cbsz:4 blgp:4// 000000006884: D3AC6800 1803379F D3AD8CF8 87E28988
	s_add_u32 s73, s73, s69                                    // 000000006894: 80494549
	s_addc_u32 s74, 0, s74                                     // 000000006898: 824A4A80
	v_mfma_scale_f32_16x16x128_f8f6f4 a[252:255], v[136:139], v[72:75], a[252:255], v159, v155 op_sel_hi:[0,0,0] cbsz:4 blgp:4// 00000000689C: D3AC7800 1803379F D3AD8CFC 87F29188
	s_mov_b32 s8, s73                                          // 0000000068AC: BE880049
	s_mov_b32 s9, s74                                          // 0000000068B0: BE89004A
	v_mfma_scale_f32_16x16x128_f8f6f4 a[152:155], v[124:127], v[68:71], a[152:155], v158, v155 op_sel_hi:[0,0,0] cbsz:4 blgp:4// 0000000068B4: D3AC6000 1803379E D3AD8C98 8662897C
	v_mfma_scale_f32_16x16x128_f8f6f4 a[156:159], v[124:127], v[72:75], a[156:159], v158, v155 op_sel_hi:[0,0,0] cbsz:4 blgp:4// 0000000068C4: D3AC7000 1803379E D3AD8C9C 8672917C
	v_mfma_scale_f32_16x16x128_f8f6f4 a[184:187], v[128:131], v[68:71], a[184:187], v158, v155 op_sel_hi:[0,0,0] cbsz:4 blgp:4// 0000000068D4: D3AC6800 1803379E D3AD8CB8 86E28980
	v_mfma_scale_f32_16x16x128_f8f6f4 a[188:191], v[128:131], v[72:75], a[188:191], v158, v155 op_sel_hi:[0,0,0] cbsz:4 blgp:4// 0000000068E4: D3AC7800 1803379E D3AD8CBC 86F29180
	s_addk_i32 s33, 0x100                                      // 0000000068F4: B7210100
	s_branch label_09F6                                        // 0000000068F8: BF82FA77

00000000000068fc <label_0F7F>:
	s_waitcnt lgkmcnt(0)                                       // 0000000068FC: BF8CC07F
	s_mov_b64 s[88:89], exec                                   // 000000006900: BED8017E
	s_mov_b32 s90, 0xffff                                      // 000000006904: BEDA00FF 0000FFFF
	s_mov_b32 s91, 0xffff0000                                  // 00000000690C: BEDB00FF FFFF0000
	s_mov_b32 s84, 1                                           // 000000006914: BED40081
	s_mov_b32 s86, 8                                           // 000000006918: BED60088
	s_mov_b32 s85, 0                                           // 00000000691C: BED50080
	s_mov_b32 s92, 0                                           // 000000006920: BEDC0080
	s_mul_i32 s31, s30, 16                                     // 000000006924: 921F901E
	v_mov_b32_e32 v3, 1.0                                      // 000000006928: 7E0602F2

000000000000692c <label_0F8B>:
	s_cmp_lt_i32 s85, s84                                      // 00000000692C: BF045455
	s_cbranch_scc0 label_103F                                  // 000000006930: BF8400B2
	s_mov_b32 s87, 0                                           // 000000006934: BED70080
	s_mul_i32 s32, 0x80, s85                                   // 000000006938: 922055FF 00000080
	s_add_i32 s35, s35, s32                                    // 000000006940: 81232023
	s_add_i32 s36, s36, s32                                    // 000000006944: 81242024
	;; [unrolled: 1-line block ×3, first 2 shown]
	s_add_i32 s38, s38, s32                                    // 00000000694C: 81262026
	s_add_i32 s39, s39, s32                                    // 000000006950: 81272027
	s_add_i32 s40, s40, s32                                    // 000000006954: 81282028
	s_add_i32 s41, s41, s32                                    // 000000006958: 81292029
	s_add_i32 s42, s42, s32                                    // 00000000695C: 812A202A
	s_mov_b32 s51, s35                                         // 000000006960: BEB30023

0000000000006964 <label_0F99>:
	s_cmp_lt_i32 s87, s86                                      // 000000006964: BF045657
	s_cbranch_scc0 label_103D                                  // 000000006968: BF8400A2
	s_add_u32 s87, 1, s87                                      // 00000000696C: 80575781
	s_set_gpr_idx_on s92, gpr_idx(SRC0)                        // 000000006970: BF11015C
	v_accvgpr_read_b32 v12, a0                                 // 000000006974: D3D8400C 18000100
	v_mul_f32_e32 v12, s20, v12                                // 00000000697C: 0A181814
	v_accvgpr_read_b32 v13, a1                                 // 000000006980: D3D8400D 18000101
	v_mul_f32_e32 v13, s20, v13                                // 000000006988: 0A1A1A14
	v_accvgpr_read_b32 v14, a2                                 // 00000000698C: D3D8400E 18000102
	v_mul_f32_e32 v14, s20, v14                                // 000000006994: 0A1C1C14
	v_accvgpr_read_b32 v15, a3                                 // 000000006998: D3D8400F 18000103
	v_mul_f32_e32 v15, s20, v15                                // 0000000069A0: 0A1E1E14
	v_accvgpr_read_b32 v16, a32                                // 0000000069A4: D3D84010 18000120
	v_mul_f32_e32 v16, s20, v16                                // 0000000069AC: 0A202014
	v_accvgpr_read_b32 v17, a33                                // 0000000069B0: D3D84011 18000121
	v_mul_f32_e32 v17, s20, v17                                // 0000000069B8: 0A222214
	v_accvgpr_read_b32 v18, a34                                // 0000000069BC: D3D84012 18000122
	v_mul_f32_e32 v18, s20, v18                                // 0000000069C4: 0A242414
	v_accvgpr_read_b32 v19, a35                                // 0000000069C8: D3D84013 18000123
	v_mul_f32_e32 v19, s20, v19                                // 0000000069D0: 0A262614
	v_accvgpr_read_b32 v20, a64                                // 0000000069D4: D3D84014 18000140
	v_mul_f32_e32 v20, s20, v20                                // 0000000069DC: 0A282814
	v_accvgpr_read_b32 v21, a65                                // 0000000069E0: D3D84015 18000141
	v_mul_f32_e32 v21, s20, v21                                // 0000000069E8: 0A2A2A14
	v_accvgpr_read_b32 v22, a66                                // 0000000069EC: D3D84016 18000142
	v_mul_f32_e32 v22, s20, v22                                // 0000000069F4: 0A2C2C14
	v_accvgpr_read_b32 v23, a67                                // 0000000069F8: D3D84017 18000143
	v_mul_f32_e32 v23, s20, v23                                // 000000006A00: 0A2E2E14
	v_accvgpr_read_b32 v24, a96                                // 000000006A04: D3D84018 18000160
	v_mul_f32_e32 v24, s20, v24                                // 000000006A0C: 0A303014
	v_accvgpr_read_b32 v25, a97                                // 000000006A10: D3D84019 18000161
	v_mul_f32_e32 v25, s20, v25                                // 000000006A18: 0A323214
	v_accvgpr_read_b32 v26, a98                                // 000000006A1C: D3D8401A 18000162
	v_mul_f32_e32 v26, s20, v26                                // 000000006A24: 0A343414
	v_accvgpr_read_b32 v27, a99                                // 000000006A28: D3D8401B 18000163
	v_mul_f32_e32 v27, s20, v27                                // 000000006A30: 0A363614
	v_accvgpr_read_b32 v28, a128                               // 000000006A34: D3D8401C 18000180
	v_mul_f32_e32 v28, s20, v28                                // 000000006A3C: 0A383814
	v_accvgpr_read_b32 v29, a129                               // 000000006A40: D3D8401D 18000181
	v_mul_f32_e32 v29, s20, v29                                // 000000006A48: 0A3A3A14
	v_accvgpr_read_b32 v30, a130                               // 000000006A4C: D3D8401E 18000182
	v_mul_f32_e32 v30, s20, v30                                // 000000006A54: 0A3C3C14
	v_accvgpr_read_b32 v31, a131                               // 000000006A58: D3D8401F 18000183
	v_mul_f32_e32 v31, s20, v31                                // 000000006A60: 0A3E3E14
	v_accvgpr_read_b32 v32, a160                               // 000000006A64: D3D84020 180001A0
	v_mul_f32_e32 v32, s20, v32                                // 000000006A6C: 0A404014
	v_accvgpr_read_b32 v33, a161                               // 000000006A70: D3D84021 180001A1
	v_mul_f32_e32 v33, s20, v33                                // 000000006A78: 0A424214
	v_accvgpr_read_b32 v34, a162                               // 000000006A7C: D3D84022 180001A2
	v_mul_f32_e32 v34, s20, v34                                // 000000006A84: 0A444414
	v_accvgpr_read_b32 v35, a163                               // 000000006A88: D3D84023 180001A3
	v_mul_f32_e32 v35, s20, v35                                // 000000006A90: 0A464614
	v_accvgpr_read_b32 v36, a192                               // 000000006A94: D3D84024 180001C0
	v_mul_f32_e32 v36, s20, v36                                // 000000006A9C: 0A484814
	v_accvgpr_read_b32 v37, a193                               // 000000006AA0: D3D84025 180001C1
	v_mul_f32_e32 v37, s20, v37                                // 000000006AA8: 0A4A4A14
	v_accvgpr_read_b32 v38, a194                               // 000000006AAC: D3D84026 180001C2
	v_mul_f32_e32 v38, s20, v38                                // 000000006AB4: 0A4C4C14
	v_accvgpr_read_b32 v39, a195                               // 000000006AB8: D3D84027 180001C3
	v_mul_f32_e32 v39, s20, v39                                // 000000006AC0: 0A4E4E14
	v_accvgpr_read_b32 v40, a224                               // 000000006AC4: D3D84028 180001E0
	v_mul_f32_e32 v40, s20, v40                                // 000000006ACC: 0A505014
	v_accvgpr_read_b32 v41, a225                               // 000000006AD0: D3D84029 180001E1
	v_mul_f32_e32 v41, s20, v41                                // 000000006AD8: 0A525214
	v_accvgpr_read_b32 v42, a226                               // 000000006ADC: D3D8402A 180001E2
	v_mul_f32_e32 v42, s20, v42                                // 000000006AE4: 0A545414
	v_accvgpr_read_b32 v43, a227                               // 000000006AE8: D3D8402B 180001E3
	v_mul_f32_e32 v43, s20, v43                                // 000000006AF0: 0A565614
	s_set_gpr_idx_off                                          // 000000006AF4: BF9C0000
	s_addk_i32 s92, 0x4                                        // 000000006AF8: B75C0004
	v_cvt_pk_bf16_f32 v44, v12, v13                            // 000000006AFC: D268002C 00021B0C
	v_cvt_pk_bf16_f32 v45, v14, v15                            // 000000006B04: D268002D 00021F0E
	v_cvt_pk_bf16_f32 v46, v16, v17                            // 000000006B0C: D268002E 00022310
	v_cvt_pk_bf16_f32 v47, v18, v19                            // 000000006B14: D268002F 00022712
	s_nop 1                                                    // 000000006B1C: BF800001
	v_permlane16_swap_b32_e32 v44, v46                         // 000000006B20: 7E58B32E
	s_nop 1                                                    // 000000006B24: BF800001
	v_permlane16_swap_b32_e32 v45, v47                         // 000000006B28: 7E5AB32F
	s_nop 1                                                    // 000000006B2C: BF800001
	buffer_store_dwordx4 v[44:47], v7, s[16:19], s51 idxen     // 000000006B30: E07C2000 33042C07
	v_cvt_pk_bf16_f32 v44, v20, v21                            // 000000006B38: D268002C 00022B14
	v_cvt_pk_bf16_f32 v45, v22, v23                            // 000000006B40: D268002D 00022F16
	v_cvt_pk_bf16_f32 v46, v24, v25                            // 000000006B48: D268002E 00023318
	v_cvt_pk_bf16_f32 v47, v26, v27                            // 000000006B50: D268002F 0002371A
	s_nop 1                                                    // 000000006B58: BF800001
	v_permlane16_swap_b32_e32 v44, v46                         // 000000006B5C: 7E58B32E
	s_nop 1                                                    // 000000006B60: BF800001
	v_permlane16_swap_b32_e32 v45, v47                         // 000000006B64: 7E5AB32F
	s_nop 1                                                    // 000000006B68: BF800001
	buffer_store_dwordx4 v[44:47], v7, s[16:19], s51 idxen offset:64// 000000006B6C: E07C2040 33042C07
	v_cvt_pk_bf16_f32 v44, v28, v29                            // 000000006B74: D268002C 00023B1C
	v_cvt_pk_bf16_f32 v45, v30, v31                            // 000000006B7C: D268002D 00023F1E
	v_cvt_pk_bf16_f32 v46, v32, v33                            // 000000006B84: D268002E 00024320
	v_cvt_pk_bf16_f32 v47, v34, v35                            // 000000006B8C: D268002F 00024722
	s_nop 1                                                    // 000000006B94: BF800001
	v_permlane16_swap_b32_e32 v44, v46                         // 000000006B98: 7E58B32E
	s_nop 1                                                    // 000000006B9C: BF800001
	v_permlane16_swap_b32_e32 v45, v47                         // 000000006BA0: 7E5AB32F
	s_nop 1                                                    // 000000006BA4: BF800001
	buffer_store_dwordx4 v[44:47], v7, s[16:19], s51 idxen offset:128// 000000006BA8: E07C2080 33042C07
	v_cvt_pk_bf16_f32 v44, v36, v37                            // 000000006BB0: D268002C 00024B24
	v_cvt_pk_bf16_f32 v45, v38, v39                            // 000000006BB8: D268002D 00024F26
	v_cvt_pk_bf16_f32 v46, v40, v41                            // 000000006BC0: D268002E 00025328
	v_cvt_pk_bf16_f32 v47, v42, v43                            // 000000006BC8: D268002F 0002572A
	s_nop 1                                                    // 000000006BD0: BF800001
	v_permlane16_swap_b32_e32 v44, v46                         // 000000006BD4: 7E58B32E
	s_nop 1                                                    // 000000006BD8: BF800001
	v_permlane16_swap_b32_e32 v45, v47                         // 000000006BDC: 7E5AB32F
	s_nop 1                                                    // 000000006BE0: BF800001
	buffer_store_dwordx4 v[44:47], v7, s[16:19], s51 idxen offset:192// 000000006BE4: E07C20C0 33042C07
	s_add_i32 s51, s51, s31                                    // 000000006BEC: 81331F33
	s_branch label_0F99                                        // 000000006BF0: BF82FF5C

0000000000006bf4 <label_103D>:
	s_add_u32 s85, 1, s85                                      // 000000006BF4: 80555581
	s_branch label_0F8B                                        // 000000006BF8: BF82FF4C

0000000000006bfc <label_103F>:
	s_waitcnt vmcnt(0) expcnt(0) lgkmcnt(0)                    // 000000006BFC: BF8C0000
	s_endpgm                                                   // 000000006C00: BF810000
